;; amdgpu-corpus repo=ROCm/rocFFT kind=compiled arch=gfx906 opt=O3
	.text
	.amdgcn_target "amdgcn-amd-amdhsa--gfx906"
	.amdhsa_code_object_version 6
	.protected	fft_rtc_fwd_len910_factors_13_2_7_5_wgs_182_tpt_91_half_op_CI_CI_unitstride_sbrr_R2C_dirReg ; -- Begin function fft_rtc_fwd_len910_factors_13_2_7_5_wgs_182_tpt_91_half_op_CI_CI_unitstride_sbrr_R2C_dirReg
	.globl	fft_rtc_fwd_len910_factors_13_2_7_5_wgs_182_tpt_91_half_op_CI_CI_unitstride_sbrr_R2C_dirReg
	.p2align	8
	.type	fft_rtc_fwd_len910_factors_13_2_7_5_wgs_182_tpt_91_half_op_CI_CI_unitstride_sbrr_R2C_dirReg,@function
fft_rtc_fwd_len910_factors_13_2_7_5_wgs_182_tpt_91_half_op_CI_CI_unitstride_sbrr_R2C_dirReg: ; @fft_rtc_fwd_len910_factors_13_2_7_5_wgs_182_tpt_91_half_op_CI_CI_unitstride_sbrr_R2C_dirReg
; %bb.0:
	s_load_dwordx4 s[8:11], s[4:5], 0x58
	s_load_dwordx4 s[12:15], s[4:5], 0x0
	;; [unrolled: 1-line block ×3, first 2 shown]
	v_mul_u32_u24_e32 v1, 0x2d1, v0
	v_lshrrev_b32_e32 v5, 16, v1
	v_mov_b32_e32 v8, 0
	s_waitcnt lgkmcnt(0)
	v_cmp_lt_u64_e64 s[0:1], s[14:15], 2
	v_mov_b32_e32 v6, 0
	v_lshl_add_u32 v10, s6, 1, v5
	v_mov_b32_e32 v11, v8
	s_and_b64 vcc, exec, s[0:1]
	v_mov_b32_e32 v7, 0
	s_cbranch_vccnz .LBB0_8
; %bb.1:
	s_load_dwordx2 s[0:1], s[4:5], 0x10
	s_add_u32 s2, s18, 8
	s_addc_u32 s3, s19, 0
	s_add_u32 s6, s16, 8
	s_addc_u32 s7, s17, 0
	v_mov_b32_e32 v6, 0
	s_waitcnt lgkmcnt(0)
	s_add_u32 s20, s0, 8
	v_mov_b32_e32 v7, 0
	v_mov_b32_e32 v1, v6
	s_addc_u32 s21, s1, 0
	s_mov_b64 s[22:23], 1
	v_mov_b32_e32 v2, v7
.LBB0_2:                                ; =>This Inner Loop Header: Depth=1
	s_load_dwordx2 s[24:25], s[20:21], 0x0
                                        ; implicit-def: $vgpr3_vgpr4
	s_waitcnt lgkmcnt(0)
	v_or_b32_e32 v9, s25, v11
	v_cmp_ne_u64_e32 vcc, 0, v[8:9]
	s_and_saveexec_b64 s[0:1], vcc
	s_xor_b64 s[26:27], exec, s[0:1]
	s_cbranch_execz .LBB0_4
; %bb.3:                                ;   in Loop: Header=BB0_2 Depth=1
	v_cvt_f32_u32_e32 v3, s24
	v_cvt_f32_u32_e32 v4, s25
	s_sub_u32 s0, 0, s24
	s_subb_u32 s1, 0, s25
	v_mac_f32_e32 v3, 0x4f800000, v4
	v_rcp_f32_e32 v3, v3
	v_mul_f32_e32 v3, 0x5f7ffffc, v3
	v_mul_f32_e32 v4, 0x2f800000, v3
	v_trunc_f32_e32 v4, v4
	v_mac_f32_e32 v3, 0xcf800000, v4
	v_cvt_u32_f32_e32 v4, v4
	v_cvt_u32_f32_e32 v3, v3
	v_mul_lo_u32 v9, s0, v4
	v_mul_hi_u32 v12, s0, v3
	v_mul_lo_u32 v14, s1, v3
	v_mul_lo_u32 v13, s0, v3
	v_add_u32_e32 v9, v12, v9
	v_add_u32_e32 v9, v9, v14
	v_mul_hi_u32 v12, v3, v13
	v_mul_lo_u32 v14, v3, v9
	v_mul_hi_u32 v16, v3, v9
	v_mul_hi_u32 v15, v4, v13
	v_mul_lo_u32 v13, v4, v13
	v_mul_hi_u32 v17, v4, v9
	v_add_co_u32_e32 v12, vcc, v12, v14
	v_addc_co_u32_e32 v14, vcc, 0, v16, vcc
	v_mul_lo_u32 v9, v4, v9
	v_add_co_u32_e32 v12, vcc, v12, v13
	v_addc_co_u32_e32 v12, vcc, v14, v15, vcc
	v_addc_co_u32_e32 v13, vcc, 0, v17, vcc
	v_add_co_u32_e32 v9, vcc, v12, v9
	v_addc_co_u32_e32 v12, vcc, 0, v13, vcc
	v_add_co_u32_e32 v3, vcc, v3, v9
	v_addc_co_u32_e32 v4, vcc, v4, v12, vcc
	v_mul_lo_u32 v9, s0, v4
	v_mul_hi_u32 v12, s0, v3
	v_mul_lo_u32 v13, s1, v3
	v_mul_lo_u32 v14, s0, v3
	v_add_u32_e32 v9, v12, v9
	v_add_u32_e32 v9, v9, v13
	v_mul_lo_u32 v15, v3, v9
	v_mul_hi_u32 v16, v3, v14
	v_mul_hi_u32 v17, v3, v9
	;; [unrolled: 1-line block ×3, first 2 shown]
	v_mul_lo_u32 v14, v4, v14
	v_mul_hi_u32 v12, v4, v9
	v_add_co_u32_e32 v15, vcc, v16, v15
	v_addc_co_u32_e32 v16, vcc, 0, v17, vcc
	v_mul_lo_u32 v9, v4, v9
	v_add_co_u32_e32 v14, vcc, v15, v14
	v_addc_co_u32_e32 v13, vcc, v16, v13, vcc
	v_addc_co_u32_e32 v12, vcc, 0, v12, vcc
	v_add_co_u32_e32 v9, vcc, v13, v9
	v_addc_co_u32_e32 v12, vcc, 0, v12, vcc
	v_add_co_u32_e32 v9, vcc, v3, v9
	v_addc_co_u32_e32 v12, vcc, v4, v12, vcc
	v_mad_u64_u32 v[3:4], s[0:1], v10, v12, 0
	v_mul_hi_u32 v13, v10, v9
	v_add_co_u32_e32 v14, vcc, v13, v3
	v_addc_co_u32_e32 v15, vcc, 0, v4, vcc
	v_mad_u64_u32 v[3:4], s[0:1], v11, v9, 0
	v_mad_u64_u32 v[12:13], s[0:1], v11, v12, 0
	v_add_co_u32_e32 v3, vcc, v14, v3
	v_addc_co_u32_e32 v3, vcc, v15, v4, vcc
	v_addc_co_u32_e32 v4, vcc, 0, v13, vcc
	v_add_co_u32_e32 v9, vcc, v3, v12
	v_addc_co_u32_e32 v12, vcc, 0, v4, vcc
	v_mul_lo_u32 v13, s25, v9
	v_mul_lo_u32 v14, s24, v12
	v_mad_u64_u32 v[3:4], s[0:1], s24, v9, 0
	v_add3_u32 v4, v4, v14, v13
	v_sub_u32_e32 v13, v11, v4
	v_mov_b32_e32 v14, s25
	v_sub_co_u32_e32 v3, vcc, v10, v3
	v_subb_co_u32_e64 v13, s[0:1], v13, v14, vcc
	v_subrev_co_u32_e64 v14, s[0:1], s24, v3
	v_subbrev_co_u32_e64 v13, s[0:1], 0, v13, s[0:1]
	v_cmp_le_u32_e64 s[0:1], s25, v13
	v_cndmask_b32_e64 v15, 0, -1, s[0:1]
	v_cmp_le_u32_e64 s[0:1], s24, v14
	v_cndmask_b32_e64 v14, 0, -1, s[0:1]
	v_cmp_eq_u32_e64 s[0:1], s25, v13
	v_cndmask_b32_e64 v13, v15, v14, s[0:1]
	v_add_co_u32_e64 v14, s[0:1], 2, v9
	v_addc_co_u32_e64 v15, s[0:1], 0, v12, s[0:1]
	v_add_co_u32_e64 v16, s[0:1], 1, v9
	v_addc_co_u32_e64 v17, s[0:1], 0, v12, s[0:1]
	v_subb_co_u32_e32 v4, vcc, v11, v4, vcc
	v_cmp_ne_u32_e64 s[0:1], 0, v13
	v_cmp_le_u32_e32 vcc, s25, v4
	v_cndmask_b32_e64 v13, v17, v15, s[0:1]
	v_cndmask_b32_e64 v15, 0, -1, vcc
	v_cmp_le_u32_e32 vcc, s24, v3
	v_cndmask_b32_e64 v3, 0, -1, vcc
	v_cmp_eq_u32_e32 vcc, s25, v4
	v_cndmask_b32_e32 v3, v15, v3, vcc
	v_cmp_ne_u32_e32 vcc, 0, v3
	v_cndmask_b32_e64 v3, v16, v14, s[0:1]
	v_cndmask_b32_e32 v4, v12, v13, vcc
	v_cndmask_b32_e32 v3, v9, v3, vcc
.LBB0_4:                                ;   in Loop: Header=BB0_2 Depth=1
	s_andn2_saveexec_b64 s[0:1], s[26:27]
	s_cbranch_execz .LBB0_6
; %bb.5:                                ;   in Loop: Header=BB0_2 Depth=1
	v_cvt_f32_u32_e32 v3, s24
	s_sub_i32 s26, 0, s24
	v_rcp_iflag_f32_e32 v3, v3
	v_mul_f32_e32 v3, 0x4f7ffffe, v3
	v_cvt_u32_f32_e32 v3, v3
	v_mul_lo_u32 v4, s26, v3
	v_mul_hi_u32 v4, v3, v4
	v_add_u32_e32 v3, v3, v4
	v_mul_hi_u32 v3, v10, v3
	v_mul_lo_u32 v4, v3, s24
	v_add_u32_e32 v9, 1, v3
	v_sub_u32_e32 v4, v10, v4
	v_subrev_u32_e32 v12, s24, v4
	v_cmp_le_u32_e32 vcc, s24, v4
	v_cndmask_b32_e32 v4, v4, v12, vcc
	v_cndmask_b32_e32 v3, v3, v9, vcc
	v_add_u32_e32 v9, 1, v3
	v_cmp_le_u32_e32 vcc, s24, v4
	v_cndmask_b32_e32 v3, v3, v9, vcc
	v_mov_b32_e32 v4, v8
.LBB0_6:                                ;   in Loop: Header=BB0_2 Depth=1
	s_or_b64 exec, exec, s[0:1]
	v_mul_lo_u32 v9, v4, s24
	v_mul_lo_u32 v14, v3, s25
	v_mad_u64_u32 v[12:13], s[0:1], v3, s24, 0
	s_load_dwordx2 s[0:1], s[6:7], 0x0
	s_load_dwordx2 s[24:25], s[2:3], 0x0
	v_add3_u32 v9, v13, v14, v9
	v_sub_co_u32_e32 v10, vcc, v10, v12
	v_subb_co_u32_e32 v9, vcc, v11, v9, vcc
	s_waitcnt lgkmcnt(0)
	v_mul_lo_u32 v11, s0, v9
	v_mul_lo_u32 v12, s1, v10
	v_mad_u64_u32 v[6:7], s[0:1], s0, v10, v[6:7]
	v_mul_lo_u32 v9, s24, v9
	v_mul_lo_u32 v13, s25, v10
	v_mad_u64_u32 v[1:2], s[0:1], s24, v10, v[1:2]
	s_add_u32 s22, s22, 1
	s_addc_u32 s23, s23, 0
	s_add_u32 s2, s2, 8
	v_add3_u32 v2, v13, v2, v9
	s_addc_u32 s3, s3, 0
	v_mov_b32_e32 v9, s14
	s_add_u32 s6, s6, 8
	v_mov_b32_e32 v10, s15
	s_addc_u32 s7, s7, 0
	v_cmp_ge_u64_e32 vcc, s[22:23], v[9:10]
	s_add_u32 s20, s20, 8
	v_add3_u32 v7, v12, v7, v11
	s_addc_u32 s21, s21, 0
	s_cbranch_vccnz .LBB0_9
; %bb.7:                                ;   in Loop: Header=BB0_2 Depth=1
	v_mov_b32_e32 v11, v4
	v_mov_b32_e32 v10, v3
	s_branch .LBB0_2
.LBB0_8:
	v_mov_b32_e32 v1, v6
	v_mov_b32_e32 v3, v10
	;; [unrolled: 1-line block ×4, first 2 shown]
.LBB0_9:
	s_load_dwordx2 s[2:3], s[4:5], 0x28
	s_lshl_b64 s[6:7], s[14:15], 3
	s_add_u32 s4, s18, s6
	v_and_b32_e32 v5, 1, v5
	s_addc_u32 s5, s19, s7
	s_waitcnt lgkmcnt(0)
	v_cmp_gt_u64_e32 vcc, s[2:3], v[3:4]
	v_cmp_le_u64_e64 s[2:3], s[2:3], v[3:4]
	v_cmp_eq_u32_e64 s[0:1], 1, v5
	v_mov_b32_e32 v8, 0x38f
                                        ; implicit-def: $vgpr5
	s_and_saveexec_b64 s[14:15], s[2:3]
	s_xor_b64 s[2:3], exec, s[14:15]
; %bb.10:
	s_mov_b32 s14, 0x2d02d03
	v_mul_hi_u32 v5, v0, s14
                                        ; implicit-def: $vgpr6_vgpr7
	v_mul_u32_u24_e32 v5, 0x5b, v5
	v_sub_u32_e32 v5, v0, v5
                                        ; implicit-def: $vgpr0
; %bb.11:
	s_or_saveexec_b64 s[2:3], s[2:3]
	v_cndmask_b32_e64 v25, 0, v8, s[0:1]
	v_lshlrev_b32_e32 v26, 2, v25
	s_xor_b64 exec, exec, s[2:3]
	s_cbranch_execz .LBB0_13
; %bb.12:
	s_add_u32 s0, s16, s6
	s_addc_u32 s1, s17, s7
	s_load_dwordx2 s[0:1], s[0:1], 0x0
	s_mov_b32 s6, 0x2d02d03
	v_mul_hi_u32 v5, v0, s6
	v_lshlrev_b64 v[6:7], 2, v[6:7]
	s_waitcnt lgkmcnt(0)
	v_mul_lo_u32 v10, s1, v3
	v_mul_lo_u32 v11, s0, v4
	v_mad_u64_u32 v[8:9], s[0:1], s0, v3, 0
	v_mul_u32_u24_e32 v5, 0x5b, v5
	v_sub_u32_e32 v5, v0, v5
	v_add3_u32 v9, v9, v11, v10
	v_lshlrev_b64 v[8:9], 2, v[8:9]
	v_mov_b32_e32 v0, s9
	v_add_co_u32_e64 v8, s[0:1], s8, v8
	v_addc_co_u32_e64 v0, s[0:1], v0, v9, s[0:1]
	v_add_co_u32_e64 v6, s[0:1], v8, v6
	v_addc_co_u32_e64 v0, s[0:1], v0, v7, s[0:1]
	v_lshlrev_b32_e32 v8, 2, v5
	v_add_co_u32_e64 v6, s[0:1], v6, v8
	v_addc_co_u32_e64 v7, s[0:1], 0, v0, s[0:1]
	global_load_dword v0, v[6:7], off
	global_load_dword v9, v[6:7], off offset:364
	global_load_dword v10, v[6:7], off offset:728
	global_load_dword v11, v[6:7], off offset:1092
	global_load_dword v12, v[6:7], off offset:1456
	global_load_dword v13, v[6:7], off offset:1820
	global_load_dword v14, v[6:7], off offset:2184
	global_load_dword v15, v[6:7], off offset:2548
	global_load_dword v16, v[6:7], off offset:2912
	global_load_dword v17, v[6:7], off offset:3276
	v_add3_u32 v6, 0, v26, v8
	v_add_u32_e32 v7, 0x200, v6
	v_add_u32_e32 v8, 0x400, v6
	;; [unrolled: 1-line block ×4, first 2 shown]
	s_waitcnt vmcnt(8)
	ds_write2_b32 v6, v0, v9 offset1:91
	s_waitcnt vmcnt(6)
	ds_write2_b32 v7, v10, v11 offset0:54 offset1:145
	s_waitcnt vmcnt(4)
	ds_write2_b32 v8, v12, v13 offset0:108 offset1:199
	;; [unrolled: 2-line block ×4, first 2 shown]
.LBB0_13:
	s_or_b64 exec, exec, s[2:3]
	v_lshlrev_b32_e32 v6, 2, v5
	v_add_u32_e32 v27, 0, v6
	v_add_u32_e32 v24, v27, v26
	;; [unrolled: 1-line block ×3, first 2 shown]
	s_waitcnt lgkmcnt(0)
	s_barrier
	ds_read2_b32 v[11:12], v0 offset0:2 offset1:72
	ds_read2_b32 v[13:14], v24 offset0:70 offset1:140
	v_add_u32_e32 v0, 0, v26
	v_add_u32_e32 v23, v0, v6
	ds_read_b32 v38, v23
	s_mov_b32 s22, 0xb770
	s_waitcnt lgkmcnt(1)
	v_pk_add_f16 v33, v13, v12 neg_lo:[0,1] neg_hi:[0,1]
	v_pk_add_f16 v35, v12, v13
	s_movk_i32 s6, 0x3b15
	v_mul_f16_sdwa v39, v33, s22 dst_sel:DWORD dst_unused:UNUSED_PAD src0_sel:WORD_1 src1_sel:DWORD
	s_mov_b32 s21, 0xba95
	v_pk_add_f16 v36, v14, v11 neg_lo:[0,1] neg_hi:[0,1]
	v_fma_f16 v7, v35, s6, v39
	s_movk_i32 s7, 0x388b
	v_pk_add_f16 v37, v11, v14
	v_mul_f16_sdwa v41, v36, s21 dst_sel:DWORD dst_unused:UNUSED_PAD src0_sel:WORD_1 src1_sel:DWORD
	s_waitcnt lgkmcnt(0)
	v_add_f16_e32 v7, v38, v7
	v_fma_f16 v8, v37, s7, v41
	v_lshrrev_b32_e32 v67, 16, v35
	v_mul_f16_e32 v45, 0xba95, v33
	v_add_f16_e32 v7, v8, v7
	v_fma_f16 v8, v67, s7, -v45
	s_mov_b32 s8, 0xb5ac
	v_lshrrev_b32_e32 v70, 16, v37
	v_mul_f16_e32 v46, 0xbb7b, v36
	s_mov_b32 s20, 0xbbf1
	v_add_f16_sdwa v8, v38, v8 dst_sel:DWORD dst_unused:UNUSED_PAD src0_sel:WORD_1 src1_sel:DWORD
	v_fma_f16 v9, v70, s8, -v46
	s_movk_i32 s9, 0x2fb7
	v_mul_f16_sdwa v50, v33, s20 dst_sel:DWORD dst_unused:UNUSED_PAD src0_sel:WORD_1 src1_sel:DWORD
	s_mov_b32 s14, 0xb3a8
	v_add_f16_e32 v8, v9, v8
	v_fma_f16 v9, v35, s9, v50
	s_mov_b32 s15, 0xbbc4
	v_mul_f16_sdwa v51, v36, s14 dst_sel:DWORD dst_unused:UNUSED_PAD src0_sel:WORD_1 src1_sel:DWORD
	v_add_f16_e32 v9, v38, v9
	v_fma_f16 v10, v37, s15, v51
	v_add_u32_e32 v31, 0x200, v24
	v_add_f16_e32 v10, v10, v9
	v_add_u32_e32 v9, 0x800, v24
	ds_read2_b32 v[17:18], v31 offset0:82 offset1:152
	ds_read2_b32 v[15:16], v9 offset0:118 offset1:188
	v_mul_f16_e32 v55, 0xbbf1, v33
	v_fma_f16 v19, v67, s9, -v55
	v_mul_f16_e32 v57, 0xb3a8, v36
	v_add_f16_sdwa v19, v38, v19 dst_sel:DWORD dst_unused:UNUSED_PAD src0_sel:WORD_1 src1_sel:DWORD
	s_waitcnt lgkmcnt(0)
	v_pk_add_f16 v40, v17, v16 neg_lo:[0,1] neg_hi:[0,1]
	v_fma_f16 v20, v70, s15, -v57
	v_pk_add_f16 v42, v16, v17
	v_mul_f16_sdwa v48, v40, s20 dst_sel:DWORD dst_unused:UNUSED_PAD src0_sel:WORD_1 src1_sel:DWORD
	v_add_f16_e32 v19, v20, v19
	v_fma_f16 v20, v42, s9, v48
	v_lshrrev_b32_e32 v84, 16, v42
	v_mul_f16_e32 v54, 0xb3a8, v40
	s_movk_i32 s24, 0x3b7b
	v_add_f16_e32 v7, v20, v7
	v_fma_f16 v20, v84, s15, -v54
	v_mul_f16_sdwa v58, v40, s24 dst_sel:DWORD dst_unused:UNUSED_PAD src0_sel:WORD_1 src1_sel:DWORD
	v_add_f16_e32 v8, v20, v8
	v_fma_f16 v20, v42, s8, v58
	v_mul_f16_e32 v61, 0x3b7b, v40
	s_mov_b32 s16, 0xbb7b
	v_pk_add_f16 v43, v18, v15 neg_lo:[0,1] neg_hi:[0,1]
	v_add_f16_e32 v10, v20, v10
	v_fma_f16 v20, v84, s8, -v61
	v_pk_add_f16 v44, v15, v18
	v_mul_f16_sdwa v52, v43, s16 dst_sel:DWORD dst_unused:UNUSED_PAD src0_sel:WORD_1 src1_sel:DWORD
	v_add_f16_e32 v28, v20, v19
	v_fma_f16 v19, v44, s8, v52
	s_mov_b32 s18, 0xb9fd
	v_lshrrev_b32_e32 v76, 16, v44
	v_mul_f16_e32 v59, 0x394e, v43
	s_movk_i32 s17, 0x3770
	v_add_f16_e32 v7, v19, v7
	v_fma_f16 v19, v76, s18, -v59
	v_mul_f16_sdwa v62, v43, s17 dst_sel:DWORD dst_unused:UNUSED_PAD src0_sel:WORD_1 src1_sel:DWORD
	v_add_f16_e32 v8, v19, v8
	v_fma_f16 v19, v44, s6, v62
	v_add_u32_e32 v34, 0x400, v24
	v_add_f16_e32 v10, v19, v10
	v_add_u32_e32 v32, 0x600, v24
	ds_read2_b32 v[21:22], v34 offset0:94 offset1:164
	ds_read2_b32 v[19:20], v32 offset0:106 offset1:176
	v_mul_f16_e32 v65, 0x3770, v43
	s_mov_b32 s19, 0xb94e
	v_fma_f16 v29, v76, s6, -v65
	v_add_f16_e32 v28, v29, v28
	s_waitcnt lgkmcnt(0)
	v_pk_add_f16 v47, v21, v20 neg_lo:[0,1] neg_hi:[0,1]
	v_pk_add_f16 v49, v20, v21
	v_mul_f16_sdwa v60, v47, s19 dst_sel:DWORD dst_unused:UNUSED_PAD src0_sel:WORD_1 src1_sel:DWORD
	v_fma_f16 v29, v49, s18, v60
	v_lshrrev_b32_e32 v85, 16, v49
	v_mul_f16_e32 v63, 0x3bf1, v47
	v_add_f16_e32 v7, v29, v7
	v_fma_f16 v29, v85, s9, -v63
	v_mul_f16_sdwa v66, v47, s21 dst_sel:DWORD dst_unused:UNUSED_PAD src0_sel:WORD_1 src1_sel:DWORD
	v_add_f16_e32 v29, v29, v8
	v_fma_f16 v8, v49, s7, v66
	v_mul_f16_e32 v71, 0xba95, v47
	v_pk_add_f16 v56, v19, v22
	v_pk_add_f16 v53, v22, v19 neg_lo:[0,1] neg_hi:[0,1]
	v_add_f16_e32 v10, v8, v10
	v_fma_f16 v8, v85, s7, -v71
	s_mov_b32 s0, 0x3b15388b
	v_lshrrev_b32_e32 v88, 16, v56
	v_mul_f16_e32 v77, 0x3770, v53
	v_add_f16_e32 v30, v8, v28
	s_mov_b32 s1, 0xba95b770
	s_mov_b32 s2, 0x388bb5ac
	v_mul_f16_sdwa v64, v53, s14 dst_sel:DWORD dst_unused:UNUSED_PAD src0_sel:WORD_1 src1_sel:DWORD
	v_pk_mul_f16 v78, v35, s0
	v_fma_f16 v28, v88, s6, -v77
	v_mul_f16_e32 v86, 0xb94e, v53
	s_mov_b32 s3, 0xbb7bba95
	s_mov_b32 s23, 0x2fb7bbc4
	v_fma_f16 v8, v56, s15, v64
	v_pk_fma_f16 v68, v33, s1, v78 op_sel:[0,0,1] op_sel_hi:[1,1,0]
	v_pk_mul_f16 v79, v37, s2
	v_add_f16_e32 v28, v28, v29
	v_fma_f16 v29, v88, s18, -v86
	v_pk_fma_f16 v78, v33, s1, v78 op_sel:[0,0,1] op_sel_hi:[1,1,0] neg_lo:[1,0,0] neg_hi:[1,0,0]
	s_mov_b32 s25, 0xb3a8bbf1
	s_mov_b32 s26, 0xb5acb9fd
	v_add_f16_e32 v8, v8, v7
	v_pk_fma_f16 v69, v36, s3, v79 op_sel:[0,0,1] op_sel_hi:[1,1,0]
	v_add_f16_sdwa v7, v38, v68 dst_sel:DWORD dst_unused:UNUSED_PAD src0_sel:DWORD src1_sel:WORD_1
	v_pk_mul_f16 v80, v42, s23
	v_add_f16_e32 v29, v29, v30
	v_pk_fma_f16 v79, v36, s3, v79 op_sel:[0,0,1] op_sel_hi:[1,1,0] neg_lo:[1,0,0] neg_hi:[1,0,0]
	v_add_f16_sdwa v30, v38, v78 dst_sel:DWORD dst_unused:UNUSED_PAD src0_sel:WORD_1 src1_sel:DWORD
	s_mov_b32 s27, 0x394ebb7b
	s_mov_b32 s28, 0xb9fd2fb7
	v_add_f16_sdwa v7, v69, v7 dst_sel:DWORD dst_unused:UNUSED_PAD src0_sel:WORD_1 src1_sel:DWORD
	v_pk_fma_f16 v72, v40, s25, v80 op_sel:[0,0,1] op_sel_hi:[1,1,0]
	v_pk_mul_f16 v81, v44, s26
	v_pk_fma_f16 v80, v40, s25, v80 op_sel:[0,0,1] op_sel_hi:[1,1,0] neg_lo:[1,0,0] neg_hi:[1,0,0]
	v_add_f16_e32 v30, v79, v30
	s_mov_b32 s29, 0x3bf1b94e
	s_mov_b32 s30, 0xbbc43b15
	v_add_f16_sdwa v7, v72, v7 dst_sel:DWORD dst_unused:UNUSED_PAD src0_sel:WORD_1 src1_sel:DWORD
	v_pk_fma_f16 v73, v43, s27, v81 op_sel:[0,0,1] op_sel_hi:[1,1,0]
	v_pk_mul_f16 v82, v49, s28
	v_pk_fma_f16 v81, v43, s27, v81 op_sel:[0,0,1] op_sel_hi:[1,1,0] neg_lo:[1,0,0] neg_hi:[1,0,0]
	v_add_f16_e32 v30, v80, v30
	s_mov_b32 s31, 0x3770b3a8
	v_add_f16_sdwa v7, v73, v7 dst_sel:DWORD dst_unused:UNUSED_PAD src0_sel:WORD_1 src1_sel:DWORD
	v_pk_fma_f16 v74, v47, s29, v82 op_sel:[0,0,1] op_sel_hi:[1,1,0]
	v_pk_mul_f16 v83, v56, s30
	v_pk_fma_f16 v82, v47, s29, v82 op_sel:[0,0,1] op_sel_hi:[1,1,0] neg_lo:[1,0,0] neg_hi:[1,0,0]
	v_add_f16_e32 v30, v81, v30
	v_mul_f16_sdwa v87, v53, s19 dst_sel:DWORD dst_unused:UNUSED_PAD src0_sel:WORD_1 src1_sel:DWORD
	v_add_f16_sdwa v7, v74, v7 dst_sel:DWORD dst_unused:UNUSED_PAD src0_sel:WORD_1 src1_sel:DWORD
	v_pk_fma_f16 v75, v53, s31, v83 op_sel:[0,0,1] op_sel_hi:[1,1,0]
	v_pk_fma_f16 v83, v53, s31, v83 op_sel:[0,0,1] op_sel_hi:[1,1,0] neg_lo:[1,0,0] neg_hi:[1,0,0]
	v_add_f16_e32 v30, v82, v30
	v_fma_f16 v89, v56, s18, v87
	s_movk_i32 s0, 0x46
	v_add_f16_sdwa v7, v75, v7 dst_sel:DWORD dst_unused:UNUSED_PAD src0_sel:WORD_1 src1_sel:DWORD
	s_movk_i32 s25, 0x394e
	s_movk_i32 s23, 0x3bf1
	v_add_f16_e32 v30, v83, v30
	v_add_f16_e32 v10, v89, v10
	v_cmp_gt_u32_e64 s[0:1], s0, v5
	s_barrier
	s_and_saveexec_b64 s[2:3], s[0:1]
	s_cbranch_execz .LBB0_15
; %bb.14:
	v_mul_f16_e32 v102, 0xb5ac, v67
	v_fma_f16 v103, v33, s24, v102
	v_mul_f16_e32 v104, 0xb9fd, v70
	v_add_f16_sdwa v103, v38, v103 dst_sel:DWORD dst_unused:UNUSED_PAD src0_sel:WORD_1 src1_sel:DWORD
	v_fma_f16 v105, v36, s19, v104
	v_add_f16_e32 v103, v105, v103
	v_mul_f16_e32 v105, 0x3b15, v84
	v_fma_f16 v106, v40, s22, v105
	v_add_f16_e32 v103, v106, v103
	v_mul_f16_e32 v106, 0x2fb7, v76
	;; [unrolled: 3-line block ×4, first 2 shown]
	v_fma_f16 v109, v53, s21, v108
	v_add_f16_e32 v103, v109, v103
	v_mul_f16_sdwa v109, v33, s16 dst_sel:DWORD dst_unused:UNUSED_PAD src0_sel:WORD_1 src1_sel:DWORD
	v_fma_f16 v110, v35, s8, v109
	v_mul_f16_sdwa v111, v36, s25 dst_sel:DWORD dst_unused:UNUSED_PAD src0_sel:WORD_1 src1_sel:DWORD
	v_add_f16_e32 v110, v38, v110
	v_fma_f16 v112, v37, s18, v111
	v_add_f16_e32 v110, v112, v110
	v_mul_f16_sdwa v112, v40, s17 dst_sel:DWORD dst_unused:UNUSED_PAD src0_sel:WORD_1 src1_sel:DWORD
	v_fma_f16 v113, v42, s6, v112
	v_add_f16_e32 v110, v113, v110
	v_mul_f16_sdwa v113, v43, s20 dst_sel:DWORD dst_unused:UNUSED_PAD src0_sel:WORD_1 src1_sel:DWORD
	v_fma_f16 v114, v44, s9, v113
	s_movk_i32 s1, 0x33a8
	v_add_f16_e32 v110, v114, v110
	v_mul_f16_sdwa v114, v47, s1 dst_sel:DWORD dst_unused:UNUSED_PAD src0_sel:WORD_1 src1_sel:DWORD
	v_fma_f16 v115, v49, s15, v114
	s_movk_i32 s0, 0x3a95
	v_add_f16_e32 v110, v115, v110
	v_mul_f16_sdwa v115, v53, s0 dst_sel:DWORD dst_unused:UNUSED_PAD src0_sel:WORD_1 src1_sel:DWORD
	v_mul_f16_e32 v91, 0x388b, v67
	v_mul_f16_e32 v93, 0x2fb7, v67
	v_fma_f16 v116, v56, s7, v115
	v_mul_f16_e32 v67, 0xb9fd, v67
	v_mul_f16_e32 v95, 0xb5ac, v70
	;; [unrolled: 1-line block ×3, first 2 shown]
	v_add_f16_e32 v110, v116, v110
	v_fma_f16 v116, v33, s25, v67
	v_mul_f16_e32 v70, 0x2fb7, v70
	v_mul_f16_e32 v99, 0xbbc4, v84
	;; [unrolled: 1-line block ×3, first 2 shown]
	v_add_f16_sdwa v116, v38, v116 dst_sel:DWORD dst_unused:UNUSED_PAD src0_sel:WORD_1 src1_sel:DWORD
	v_fma_f16 v117, v36, s20, v70
	v_mul_f16_e32 v84, 0x388b, v84
	v_add_f16_e32 v116, v117, v116
	v_fma_f16 v117, v40, s0, v84
	v_add_f16_e32 v116, v117, v116
	v_mul_f16_e32 v117, 0xbbc4, v76
	v_fma_f16 v118, v43, s14, v117
	v_add_f16_e32 v116, v118, v116
	v_mul_f16_e32 v118, 0x3b15, v85
	;; [unrolled: 3-line block ×3, first 2 shown]
	v_fma_f16 v120, v53, s24, v119
	v_pk_add_f16 v13, v38, v13
	v_add_f16_e32 v116, v120, v116
	v_mul_f16_sdwa v120, v33, s19 dst_sel:DWORD dst_unused:UNUSED_PAD src0_sel:WORD_1 src1_sel:DWORD
	v_pk_add_f16 v13, v13, v14
	v_fma_f16 v121, v35, s18, v120
	v_mul_f16_sdwa v122, v36, s23 dst_sel:DWORD dst_unused:UNUSED_PAD src0_sel:WORD_1 src1_sel:DWORD
	v_fma_f16 v67, v33, s19, v67
	v_pk_add_f16 v13, v13, v17
	v_add_f16_e32 v121, v38, v121
	v_fma_f16 v123, v37, s9, v122
	v_add_f16_sdwa v67, v38, v67 dst_sel:DWORD dst_unused:UNUSED_PAD src0_sel:WORD_1 src1_sel:DWORD
	v_fma_f16 v70, v36, s23, v70
	v_pk_add_f16 v13, v13, v18
	v_mul_f16_e32 v92, 0x2fb7, v35
	v_add_f16_e32 v121, v123, v121
	v_mul_f16_sdwa v123, v40, s21 dst_sel:DWORD dst_unused:UNUSED_PAD src0_sel:WORD_1 src1_sel:DWORD
	v_add_f16_e32 v67, v70, v67
	v_fma_f16 v84, v40, s21, v84
	v_add_f16_e32 v45, v45, v91
	v_pk_add_f16 v13, v13, v21
	v_mul_f16_e32 v96, 0xbbc4, v37
	v_fma_f16 v124, v42, s7, v123
	v_add_f16_e32 v67, v84, v67
	v_fma_f16 v117, v43, s1, v117
	v_fma_f16 v120, v35, s18, -v120
	v_fma_f16 v102, v33, s16, v102
	v_sub_f16_e32 v50, v92, v50
	v_add_f16_sdwa v45, v38, v45 dst_sel:DWORD dst_unused:UNUSED_PAD src0_sel:WORD_1 src1_sel:DWORD
	v_add_f16_e32 v46, v46, v95
	v_pk_add_f16 v13, v13, v22
	v_mul_f16_e32 v100, 0xb5ac, v42
	v_add_f16_e32 v121, v124, v121
	v_mul_f16_sdwa v124, v43, s1 dst_sel:DWORD dst_unused:UNUSED_PAD src0_sel:WORD_1 src1_sel:DWORD
	v_mul_f16_e32 v70, 0xb9fd, v76
	v_add_f16_e32 v67, v117, v67
	v_fma_f16 v118, v47, s17, v118
	v_add_f16_e32 v120, v38, v120
	v_fma_f16 v122, v37, s9, -v122
	v_add_f16_sdwa v102, v38, v102 dst_sel:DWORD dst_unused:UNUSED_PAD src0_sel:WORD_1 src1_sel:DWORD
	v_fma_f16 v104, v36, s25, v104
	v_add_f16_e32 v50, v38, v50
	v_sub_f16_e32 v51, v96, v51
	v_add_f16_e32 v45, v46, v45
	v_add_f16_e32 v46, v54, v99
	v_pk_add_f16 v13, v13, v19
	v_fma_f16 v125, v44, s15, v124
	v_mul_f16_e32 v84, 0x3b15, v44
	v_add_f16_e32 v67, v118, v67
	v_mul_f16_e32 v118, 0x2fb7, v85
	v_fma_f16 v119, v53, s16, v119
	v_add_f16_e32 v120, v122, v120
	v_fma_f16 v123, v42, s7, -v123
	v_add_f16_e32 v102, v104, v102
	v_fma_f16 v104, v40, s17, v105
	v_add_f16_e32 v55, v55, v93
	v_add_f16_e32 v50, v51, v50
	v_sub_f16_e32 v51, v100, v58
	v_add_f16_e32 v45, v46, v45
	v_add_f16_e32 v46, v59, v70
	v_pk_add_f16 v13, v13, v20
	v_add_f16_e32 v121, v125, v121
	v_mul_f16_sdwa v125, v47, s17 dst_sel:DWORD dst_unused:UNUSED_PAD src0_sel:WORD_1 src1_sel:DWORD
	v_add_f16_e32 v67, v119, v67
	v_mul_f16_e32 v119, 0x388b, v49
	v_add_f16_e32 v120, v123, v120
	v_mul_f16_e32 v123, 0x3b15, v88
	v_fma_f16 v124, v44, s15, -v124
	v_add_f16_e32 v102, v104, v102
	v_fma_f16 v104, v43, s20, v106
	v_add_f16_sdwa v55, v38, v55 dst_sel:DWORD dst_unused:UNUSED_PAD src0_sel:WORD_1 src1_sel:DWORD
	v_add_f16_e32 v57, v57, v97
	v_add_f16_e32 v50, v51, v50
	v_sub_f16_e32 v51, v84, v62
	v_add_f16_e32 v45, v46, v45
	v_add_f16_e32 v46, v63, v118
	v_pk_add_f16 v13, v13, v15
	v_mul_f16_e32 v90, 0x3b15, v35
	v_fma_f16 v126, v49, s6, v125
	v_mul_f16_e32 v76, 0x3b15, v76
	v_add_f16_e32 v120, v124, v120
	v_mul_f16_e32 v124, 0xb9fd, v56
	v_add_f16_e32 v102, v104, v102
	v_fma_f16 v104, v47, s1, v107
	v_add_f16_e32 v55, v57, v55
	v_add_f16_e32 v57, v61, v101
	;; [unrolled: 1-line block ×3, first 2 shown]
	v_sub_f16_e32 v51, v119, v66
	v_add_f16_e32 v45, v46, v45
	v_add_f16_e32 v46, v77, v123
	s_mov_b32 s1, 0xffff
	v_pk_add_f16 v13, v13, v16
	v_alignbit_b32 v89, v38, v38, 16
	v_mul_f16_e32 v94, 0x388b, v37
	v_add_f16_e32 v121, v126, v121
	v_mul_f16_sdwa v126, v53, s16 dst_sel:DWORD dst_unused:UNUSED_PAD src0_sel:WORD_1 src1_sel:DWORD
	v_mul_f16_e32 v85, 0x388b, v85
	v_add_f16_e32 v102, v104, v102
	v_fma_f16 v104, v53, s0, v108
	v_add_f16_e32 v55, v57, v55
	v_add_f16_e32 v57, v65, v76
	;; [unrolled: 1-line block ×3, first 2 shown]
	v_sub_f16_e32 v51, v124, v87
	v_add_f16_e32 v45, v46, v45
	v_bfi_b32 v46, s1, v68, v78
	v_sub_f16_e32 v39, v90, v39
	v_pk_add_f16 v11, v13, v11
	v_mul_f16_e32 v98, 0x2fb7, v42
	v_fma_f16 v127, v56, s8, v126
	v_mul_f16_e32 v88, 0xb9fd, v88
	v_add_f16_e32 v102, v104, v102
	v_fma_f16 v104, v35, s8, -v109
	v_add_f16_e32 v55, v57, v55
	v_add_f16_e32 v57, v71, v85
	;; [unrolled: 1-line block ×3, first 2 shown]
	v_bfi_b32 v51, s1, v69, v79
	v_add_f16_e32 v39, v38, v39
	v_sub_f16_e32 v41, v94, v41
	v_pk_add_f16 v11, v11, v12
	v_pk_add_f16 v12, v89, v46
	v_add_f16_e32 v121, v127, v121
	v_mul_f16_e32 v127, 0xb5ac, v44
	v_add_f16_e32 v104, v38, v104
	v_fma_f16 v105, v37, s18, -v111
	v_add_f16_e32 v55, v57, v55
	v_add_f16_e32 v57, v86, v88
	v_bfi_b32 v54, s1, v72, v80
	v_add_f16_e32 v39, v41, v39
	v_sub_f16_e32 v41, v98, v48
	v_pk_add_f16 v12, v51, v12
	v_mul_f16_e32 v117, 0xb9fd, v49
	v_add_f16_e32 v104, v105, v104
	v_fma_f16 v105, v42, s6, -v112
	v_add_f16_e32 v55, v57, v55
	v_bfi_b32 v57, s1, v73, v81
	v_add_f16_e32 v39, v41, v39
	v_sub_f16_e32 v41, v127, v52
	v_pk_add_f16 v12, v54, v12
	v_mul_f16_e32 v122, 0xbbc4, v56
	v_add_f16_e32 v104, v105, v104
	v_fma_f16 v105, v44, s9, -v113
	v_bfi_b32 v58, s1, v74, v82
	v_add_f16_e32 v39, v41, v39
	v_sub_f16_e32 v41, v117, v60
	v_pk_add_f16 v12, v57, v12
	v_add_f16_e32 v104, v105, v104
	v_fma_f16 v105, v49, s15, -v114
	v_bfi_b32 v59, s1, v75, v83
	v_add_f16_e32 v39, v41, v39
	v_sub_f16_e32 v41, v122, v64
	v_pk_add_f16 v12, v58, v12
	v_fma_f16 v125, v49, s6, -v125
	v_add_f16_e32 v104, v105, v104
	v_fma_f16 v105, v56, s7, -v115
	v_add_f16_e32 v39, v41, v39
	v_mul_u32_u24_e32 v38, 48, v5
	v_pk_add_f16 v12, v59, v12
	v_add_f16_e32 v120, v125, v120
	v_fma_f16 v125, v56, s8, -v126
	v_add_f16_e32 v104, v105, v104
	v_add3_u32 v38, v27, v38, v26
	v_alignbit_b32 v13, v45, v12, 16
	v_pack_b32_f16 v12, v39, v12
	v_add_f16_e32 v120, v125, v120
	ds_write2_b32 v38, v12, v13 offset0:1 offset1:2
	v_pack_b32_f16 v12, v50, v55
	v_pack_b32_f16 v13, v104, v102
	ds_write2_b32 v38, v12, v13 offset0:3 offset1:4
	v_pack_b32_f16 v12, v120, v67
	ds_write2_b32 v38, v11, v12 offset1:5
	v_pk_mul_f16 v11, v35, s15 op_sel_hi:[1,0]
	v_pk_fma_f16 v12, v33, s14, v11 op_sel:[0,0,1] op_sel_hi:[1,0,0] neg_lo:[1,0,0] neg_hi:[1,0,0]
	v_pk_mul_f16 v13, v37, s6 op_sel_hi:[1,0]
	v_pk_add_f16 v12, v89, v12
	v_pk_fma_f16 v14, v36, s17, v13 op_sel:[0,0,1] op_sel_hi:[1,0,0] neg_lo:[1,0,0] neg_hi:[1,0,0]
	v_pk_add_f16 v12, v14, v12
	v_pk_mul_f16 v14, v42, s18 op_sel_hi:[1,0]
	v_pk_fma_f16 v15, v40, s19, v14 op_sel:[0,0,1] op_sel_hi:[1,0,0] neg_lo:[1,0,0] neg_hi:[1,0,0]
	v_pk_add_f16 v12, v15, v12
	v_pk_mul_f16 v15, v44, s7 op_sel_hi:[1,0]
	v_pk_fma_f16 v11, v33, s14, v11 op_sel:[0,0,1] op_sel_hi:[1,0,0]
	v_pk_fma_f16 v16, v43, s0, v15 op_sel:[0,0,1] op_sel_hi:[1,0,0] neg_lo:[1,0,0] neg_hi:[1,0,0]
	v_pk_add_f16 v11, v89, v11
	v_pk_fma_f16 v13, v36, s17, v13 op_sel:[0,0,1] op_sel_hi:[1,0,0]
	v_pk_add_f16 v12, v16, v12
	v_pk_mul_f16 v16, v49, s8 op_sel_hi:[1,0]
	v_pk_add_f16 v11, v13, v11
	v_pk_fma_f16 v13, v40, s19, v14 op_sel:[0,0,1] op_sel_hi:[1,0,0]
	v_pk_fma_f16 v17, v47, s16, v16 op_sel:[0,0,1] op_sel_hi:[1,0,0] neg_lo:[1,0,0] neg_hi:[1,0,0]
	v_pk_add_f16 v11, v13, v11
	v_pk_fma_f16 v13, v43, s0, v15 op_sel:[0,0,1] op_sel_hi:[1,0,0]
	v_pk_add_f16 v12, v17, v12
	v_pk_mul_f16 v17, v56, s9 op_sel_hi:[1,0]
	v_pk_add_f16 v11, v13, v11
	v_pk_fma_f16 v13, v47, s16, v16 op_sel:[0,0,1] op_sel_hi:[1,0,0]
	v_pk_fma_f16 v18, v53, s23, v17 op_sel:[0,0,1] op_sel_hi:[1,0,0] neg_lo:[1,0,0] neg_hi:[1,0,0]
	v_pk_add_f16 v11, v13, v11
	v_pk_fma_f16 v13, v53, s23, v17 op_sel:[0,0,1] op_sel_hi:[1,0,0]
	v_pk_add_f16 v12, v18, v12
	v_pk_add_f16 v11, v13, v11
	v_alignbit_b32 v13, v12, v11, 16
	v_alignbit_b32 v11, v11, v12, 16
	ds_write2_b32 v38, v11, v13 offset0:6 offset1:7
	v_pack_b32_f16 v11, v110, v103
	v_pack_b32_f16 v12, v121, v116
	s_mov_b32 s0, 0x5040100
	ds_write2_b32 v38, v12, v11 offset0:8 offset1:9
	v_perm_b32 v11, v28, v7, s0
	v_perm_b32 v12, v29, v10, s0
	ds_write2_b32 v38, v12, v11 offset0:10 offset1:11
	v_perm_b32 v11, v30, v8, s0
	ds_write_b32 v38, v11 offset:48
.LBB0_15:
	s_or_b64 exec, exec, s[2:3]
	v_add_u32_e32 v19, 0x5b, v5
	s_movk_i32 s0, 0x4f
	v_add_u32_e32 v11, 0xb6, v5
	v_mul_lo_u16_sdwa v36, v5, s0 dst_sel:DWORD dst_unused:UNUSED_PAD src0_sel:BYTE_0 src1_sel:DWORD
	v_mul_lo_u16_sdwa v20, v19, s0 dst_sel:DWORD dst_unused:UNUSED_PAD src0_sel:BYTE_0 src1_sel:DWORD
	s_movk_i32 s0, 0x4ec5
	v_mul_u32_u24_sdwa v16, v11, s0 dst_sel:DWORD dst_unused:UNUSED_PAD src0_sel:WORD_0 src1_sel:DWORD
	v_lshrrev_b32_e32 v35, 18, v16
	v_add_u32_e32 v12, 0x111, v5
	v_mul_lo_u16_e32 v16, 13, v35
	v_sub_u16_e32 v11, v11, v16
	v_mul_u32_u24_sdwa v16, v12, s0 dst_sel:DWORD dst_unused:UNUSED_PAD src0_sel:WORD_0 src1_sel:DWORD
	v_lshrrev_b32_e32 v37, 18, v16
	v_add_u32_e32 v13, 0x16c, v5
	v_mul_lo_u16_e32 v16, 13, v37
	v_sub_u16_e32 v12, v12, v16
	v_mul_u32_u24_sdwa v16, v13, s0 dst_sel:DWORD dst_unused:UNUSED_PAD src0_sel:WORD_0 src1_sel:DWORD
	v_lshrrev_b32_e32 v38, 18, v16
	v_lshrrev_b16_e32 v21, 10, v36
	v_lshrrev_b16_e32 v33, 10, v20
	v_mul_lo_u16_e32 v16, 13, v38
	v_mul_lo_u16_e32 v14, 13, v21
	;; [unrolled: 1-line block ×3, first 2 shown]
	v_sub_u16_e32 v13, v13, v16
	v_sub_u16_e32 v14, v5, v14
	;; [unrolled: 1-line block ×3, first 2 shown]
	v_mov_b32_e32 v22, 2
	v_lshlrev_b32_e32 v43, 2, v13
	s_load_dwordx2 s[2:3], s[4:5], 0x0
	s_waitcnt lgkmcnt(0)
	s_barrier
	v_lshlrev_b32_sdwa v39, v22, v14 dst_sel:DWORD dst_unused:UNUSED_PAD src0_sel:DWORD src1_sel:BYTE_0
	v_lshlrev_b32_sdwa v40, v22, v15 dst_sel:DWORD dst_unused:UNUSED_PAD src0_sel:DWORD src1_sel:BYTE_0
	v_lshlrev_b32_e32 v41, 2, v11
	v_lshlrev_b32_e32 v42, 2, v12
	global_load_dword v44, v43, s[12:13]
	global_load_dword v45, v42, s[12:13]
	;; [unrolled: 1-line block ×5, first 2 shown]
	ds_read2_b32 v[11:12], v32 offset0:71 offset1:162
	ds_read2_b32 v[13:14], v24 offset0:91 offset1:182
	;; [unrolled: 1-line block ×4, first 2 shown]
	ds_read_b32 v34, v23
	ds_read_b32 v9, v24 offset:3276
	s_movk_i32 s1, 0x68
	v_mad_u32_u24 v21, v21, s1, 0
	v_mad_u32_u24 v33, v33, s1, 0
	;; [unrolled: 1-line block ×5, first 2 shown]
	v_add3_u32 v21, v21, v39, v26
	v_add3_u32 v33, v33, v40, v26
	;; [unrolled: 1-line block ×5, first 2 shown]
	s_mov_b32 s0, 0xffff
	s_waitcnt vmcnt(0) lgkmcnt(0)
	s_barrier
	v_pk_mul_f16 v39, v44, v9 op_sel:[0,1]
	v_pk_mul_f16 v40, v45, v16 op_sel:[0,1]
	;; [unrolled: 1-line block ×5, first 2 shown]
	v_pk_fma_f16 v49, v44, v9, v39 op_sel:[0,0,1] op_sel_hi:[1,1,0] neg_lo:[0,0,1] neg_hi:[0,0,1]
	v_pk_fma_f16 v9, v44, v9, v39 op_sel:[0,0,1] op_sel_hi:[1,0,0]
	v_pk_fma_f16 v39, v45, v16, v40 op_sel:[0,0,1] op_sel_hi:[1,1,0] neg_lo:[0,0,1] neg_hi:[0,0,1]
	v_pk_fma_f16 v16, v45, v16, v40 op_sel:[0,0,1] op_sel_hi:[1,0,0]
	;; [unrolled: 2-line block ×5, first 2 shown]
	v_bfi_b32 v9, s0, v49, v9
	v_bfi_b32 v16, s0, v39, v16
	v_bfi_b32 v15, s0, v40, v15
	v_bfi_b32 v12, s0, v41, v12
	v_bfi_b32 v39, s0, v42, v11
	v_pk_add_f16 v9, v18, v9 neg_lo:[0,1] neg_hi:[0,1]
	v_pk_add_f16 v11, v17, v16 neg_lo:[0,1] neg_hi:[0,1]
	;; [unrolled: 1-line block ×5, first 2 shown]
	v_pk_fma_f16 v12, v18, 2.0, v9 op_sel_hi:[1,0,1] neg_lo:[0,0,1] neg_hi:[0,0,1]
	v_pk_fma_f16 v17, v17, 2.0, v11 op_sel_hi:[1,0,1] neg_lo:[0,0,1] neg_hi:[0,0,1]
	;; [unrolled: 1-line block ×5, first 2 shown]
	ds_write2_b32 v21, v18, v39 offset1:13
	ds_write2_b32 v33, v13, v16 offset1:13
	;; [unrolled: 1-line block ×5, first 2 shown]
	s_waitcnt lgkmcnt(0)
	s_barrier
	ds_read_b32 v35, v23
	ds_read2_b32 v[17:18], v31 offset0:2 offset1:132
	ds_read2_b32 v[13:14], v32 offset0:6 offset1:136
	v_add_u32_e32 v15, 0xa00, v24
	ds_read2_b32 v[15:16], v15 offset0:10 offset1:140
	v_cmp_gt_u32_e64 s[0:1], 39, v5
	v_lshrrev_b32_e32 v32, 16, v12
	v_lshrrev_b32_e32 v31, 16, v9
	;; [unrolled: 1-line block ×3, first 2 shown]
                                        ; implicit-def: $vgpr33
                                        ; implicit-def: $vgpr34
	s_and_saveexec_b64 s[4:5], s[0:1]
	s_cbranch_execz .LBB0_17
; %bb.16:
	v_add_u32_e32 v7, 0x400, v24
	ds_read2_b32 v[9:10], v7 offset0:95 offset1:225
	v_add_u32_e32 v7, 0x800, v24
	ds_read2_b32 v[11:12], v24 offset0:91 offset1:221
	ds_read2_b32 v[7:8], v7 offset0:99 offset1:229
	ds_read_u16 v31, v24 offset:1406
	ds_read_b32 v34, v24 offset:3484
	s_waitcnt lgkmcnt(4)
	v_lshrrev_b32_e32 v29, 16, v10
	s_waitcnt lgkmcnt(2)
	v_lshrrev_b32_e32 v28, 16, v7
	v_lshrrev_b32_e32 v21, 16, v11
	;; [unrolled: 1-line block ×3, first 2 shown]
	s_waitcnt lgkmcnt(0)
	v_lshrrev_b32_e32 v33, 16, v34
	v_lshrrev_b32_e32 v32, 16, v12
.LBB0_17:
	s_or_b64 exec, exec, s[4:5]
	v_lshrrev_b16_e32 v43, 11, v36
	v_mul_lo_u16_e32 v36, 26, v43
	v_sub_u16_e32 v44, v5, v36
	v_mov_b32_e32 v36, 6
	v_mul_u32_u24_sdwa v37, v44, v36 dst_sel:DWORD dst_unused:UNUSED_PAD src0_sel:BYTE_0 src1_sel:DWORD
	v_lshlrev_b32_e32 v45, 2, v37
	global_load_dwordx4 v[37:40], v45, s[12:13] offset:52
	global_load_dwordx2 v[41:42], v45, s[12:13] offset:68
	s_waitcnt lgkmcnt(2)
	v_lshrrev_b32_e32 v45, 16, v17
	v_lshrrev_b32_e32 v46, 16, v18
	s_waitcnt lgkmcnt(0)
	v_lshrrev_b32_e32 v49, 16, v15
	v_lshrrev_b32_e32 v50, 16, v16
	;; [unrolled: 1-line block ×4, first 2 shown]
	s_movk_i32 s9, 0x2b26
	s_movk_i32 s6, 0x3b00
	s_mov_b32 s8, 0xbcab
	s_movk_i32 s7, 0x39e0
	s_mov_b32 s14, 0xb9e0
	;; [unrolled: 2-line block ×3, first 2 shown]
	s_movk_i32 s15, 0x370e
	s_movk_i32 s18, 0x2d8
	v_lshlrev_b32_sdwa v22, v22, v44 dst_sel:DWORD dst_unused:UNUSED_PAD src0_sel:DWORD src1_sel:BYTE_0
	s_waitcnt vmcnt(0)
	s_barrier
	v_mul_f16_sdwa v51, v37, v45 dst_sel:DWORD dst_unused:UNUSED_PAD src0_sel:WORD_1 src1_sel:DWORD
	v_mul_f16_sdwa v52, v37, v17 dst_sel:DWORD dst_unused:UNUSED_PAD src0_sel:WORD_1 src1_sel:DWORD
	;; [unrolled: 1-line block ×12, first 2 shown]
	v_fma_f16 v17, v37, v17, -v51
	v_fma_f16 v37, v37, v45, v52
	v_fma_f16 v18, v38, v18, -v53
	v_fma_f16 v38, v38, v46, v54
	;; [unrolled: 2-line block ×6, first 2 shown]
	v_add_f16_e32 v45, v17, v16
	v_add_f16_e32 v46, v37, v42
	v_sub_f16_e32 v16, v17, v16
	v_sub_f16_e32 v17, v37, v42
	v_add_f16_e32 v37, v18, v15
	v_add_f16_e32 v42, v38, v41
	v_sub_f16_e32 v15, v18, v15
	v_sub_f16_e32 v18, v38, v41
	;; [unrolled: 4-line block ×4, first 2 shown]
	v_sub_f16_e32 v45, v45, v38
	v_sub_f16_e32 v46, v46, v41
	;; [unrolled: 1-line block ×4, first 2 shown]
	v_add_f16_e32 v49, v13, v15
	v_add_f16_e32 v50, v14, v18
	v_sub_f16_e32 v51, v13, v15
	v_sub_f16_e32 v52, v14, v18
	;; [unrolled: 1-line block ×4, first 2 shown]
	v_add_f16_e32 v38, v38, v39
	v_add_f16_e32 v39, v41, v40
	v_sub_f16_e32 v13, v16, v13
	v_sub_f16_e32 v14, v17, v14
	v_add_f16_e32 v16, v49, v16
	v_add_f16_e32 v17, v50, v17
	v_mul_f16_e32 v40, 0x3a52, v45
	v_mul_f16_e32 v41, 0x3a52, v46
	;; [unrolled: 1-line block ×8, first 2 shown]
	v_add_f16_e32 v53, v38, v35
	v_add_f16_sdwa v35, v39, v35 dst_sel:DWORD dst_unused:UNUSED_PAD src0_sel:DWORD src1_sel:WORD_1
	v_fma_f16 v37, v37, s9, v40
	v_fma_f16 v42, v42, s9, v41
	v_fma_f16 v45, v47, s7, -v45
	v_fma_f16 v46, v48, s7, -v46
	;; [unrolled: 1-line block ×3, first 2 shown]
	v_fma_f16 v38, v38, s8, v53
	v_fma_f16 v39, v39, s8, v35
	v_fma_f16 v41, v48, s14, -v41
	v_fma_f16 v47, v13, s16, v49
	v_fma_f16 v48, v14, s16, v50
	v_fma_f16 v15, v15, s6, -v49
	v_fma_f16 v18, v18, s6, -v50
	;; [unrolled: 1-line block ×4, first 2 shown]
	v_add_f16_e32 v37, v37, v38
	v_add_f16_e32 v42, v42, v39
	;; [unrolled: 1-line block ×6, first 2 shown]
	v_fma_f16 v40, v16, s15, v47
	v_fma_f16 v41, v17, s15, v48
	;; [unrolled: 1-line block ×6, first 2 shown]
	v_add_f16_e32 v16, v41, v37
	v_sub_f16_e32 v17, v42, v40
	v_add_f16_e32 v47, v14, v38
	v_sub_f16_e32 v48, v39, v13
	v_sub_f16_e32 v49, v45, v18
	v_add_f16_e32 v50, v15, v46
	v_add_f16_e32 v18, v18, v45
	v_sub_f16_e32 v15, v46, v15
	v_sub_f16_e32 v14, v38, v14
	v_add_f16_e32 v13, v13, v39
	v_mad_u32_u24 v39, v43, s18, 0
	v_sub_f16_e32 v37, v37, v41
	v_add_f16_e32 v38, v40, v42
	v_add3_u32 v22, v39, v22, v26
	v_pack_b32_f16 v35, v53, v35
	v_pack_b32_f16 v16, v16, v17
	;; [unrolled: 1-line block ×4, first 2 shown]
	ds_write2_b32 v22, v35, v16 offset1:26
	v_pack_b32_f16 v16, v47, v48
	v_pack_b32_f16 v17, v49, v50
	ds_write2_b32 v22, v15, v13 offset0:104 offset1:130
	v_pack_b32_f16 v13, v37, v38
	ds_write2_b32 v22, v16, v17 offset0:52 offset1:78
	ds_write_b32 v22, v13 offset:624
	s_and_saveexec_b64 s[4:5], s[0:1]
	s_cbranch_execz .LBB0_19
; %bb.18:
	v_lshrrev_b16_e32 v20, 11, v20
	v_mul_lo_u16_e32 v13, 26, v20
	v_sub_u16_e32 v22, v19, v13
	v_mul_u32_u24_sdwa v13, v22, v36 dst_sel:DWORD dst_unused:UNUSED_PAD src0_sel:BYTE_0 src1_sel:DWORD
	v_lshlrev_b32_e32 v35, 2, v13
	global_load_dwordx4 v[13:16], v35, s[12:13] offset:52
	global_load_dwordx2 v[17:18], v35, s[12:13] offset:68
	s_waitcnt vmcnt(1)
	v_mul_f16_sdwa v35, v32, v13 dst_sel:DWORD dst_unused:UNUSED_PAD src0_sel:DWORD src1_sel:WORD_1
	s_waitcnt vmcnt(0)
	v_mul_f16_sdwa v36, v33, v18 dst_sel:DWORD dst_unused:UNUSED_PAD src0_sel:DWORD src1_sel:WORD_1
	v_mul_f16_sdwa v37, v28, v16 dst_sel:DWORD dst_unused:UNUSED_PAD src0_sel:DWORD src1_sel:WORD_1
	;; [unrolled: 1-line block ×11, first 2 shown]
	v_fma_f16 v12, v12, v13, -v35
	v_fma_f16 v34, v34, v18, -v36
	;; [unrolled: 1-line block ×6, first 2 shown]
	v_fma_f16 v18, v33, v18, v41
	v_fma_f16 v13, v32, v13, v42
	;; [unrolled: 1-line block ×6, first 2 shown]
	v_sub_f16_e32 v28, v12, v34
	v_sub_f16_e32 v29, v7, v10
	;; [unrolled: 1-line block ×3, first 2 shown]
	v_add_f16_e32 v31, v13, v18
	v_add_f16_e32 v33, v14, v17
	;; [unrolled: 1-line block ×6, first 2 shown]
	v_sub_f16_e32 v9, v13, v18
	v_sub_f16_e32 v10, v16, v15
	;; [unrolled: 1-line block ×5, first 2 shown]
	v_add_f16_e32 v16, v29, v30
	v_add_f16_e32 v29, v33, v31
	v_sub_f16_e32 v17, v31, v32
	v_sub_f16_e32 v18, v32, v33
	;; [unrolled: 1-line block ×4, first 2 shown]
	v_add_f16_e32 v36, v8, v12
	v_sub_f16_e32 v37, v9, v10
	v_sub_f16_e32 v38, v10, v13
	v_add_f16_e32 v10, v10, v13
	v_sub_f16_e32 v30, v30, v28
	v_sub_f16_e32 v8, v8, v12
	;; [unrolled: 1-line block ×3, first 2 shown]
	v_mul_f16_e32 v13, 0xb846, v15
	v_add_f16_e32 v15, v16, v28
	v_add_f16_e32 v28, v32, v29
	v_sub_f16_e32 v31, v33, v31
	v_mul_f16_e32 v16, 0x3a52, v17
	v_mul_f16_e32 v17, 0x2b26, v18
	v_add_f16_e32 v7, v7, v36
	v_add_f16_e32 v21, v21, v28
	v_mul_f16_e32 v29, 0x3a52, v34
	v_mul_f16_e32 v32, 0x2b26, v35
	;; [unrolled: 1-line block ×3, first 2 shown]
	v_add_f16_e32 v9, v10, v9
	v_mul_f16_e32 v10, 0x3b00, v30
	v_mul_f16_e32 v34, 0x3b00, v12
	v_fma_f16 v36, v14, s16, v13
	v_add_f16_e32 v11, v11, v7
	v_fma_f16 v28, v28, s8, v21
	v_fma_f16 v17, v31, s7, -v17
	v_fma_f16 v13, v30, s6, -v13
	v_fma_f16 v18, v18, s9, v16
	v_fma_f16 v35, v35, s9, v29
	v_fma_f16 v38, v37, s16, v33
	v_fma_f16 v10, v14, s17, -v10
	v_fma_f16 v14, v31, s14, -v16
	;; [unrolled: 1-line block ×4, first 2 shown]
	v_fma_f16 v7, v7, s8, v11
	v_add_f16_e32 v17, v17, v28
	v_fma_f16 v13, v15, s15, v13
	v_fma_f16 v12, v12, s6, -v33
	v_fma_f16 v8, v8, s7, -v32
	v_fma_f16 v34, v15, s15, v36
	v_fma_f16 v36, v9, s15, v38
	;; [unrolled: 1-line block ×4, first 2 shown]
	v_add_f16_e32 v35, v35, v7
	v_add_f16_e32 v14, v14, v28
	;; [unrolled: 1-line block ×3, first 2 shown]
	v_sub_f16_e32 v15, v17, v13
	v_fma_f16 v9, v9, s15, v12
	v_add_f16_e32 v7, v8, v7
	v_add_f16_e32 v12, v13, v17
	v_mov_b32_e32 v17, 2
	v_add_f16_e32 v39, v10, v14
	v_sub_f16_e32 v40, v16, v29
	v_add_f16_e32 v8, v9, v7
	v_sub_f16_e32 v7, v7, v9
	v_sub_f16_e32 v9, v14, v10
	v_add_f16_e32 v10, v29, v16
	v_mad_u32_u24 v16, v20, s18, 0
	v_lshlrev_b32_sdwa v17, v17, v22 dst_sel:DWORD dst_unused:UNUSED_PAD src0_sel:DWORD src1_sel:BYTE_0
	v_add_f16_e32 v18, v18, v28
	v_add3_u32 v16, v16, v17, v26
	v_pack_b32_f16 v9, v10, v9
	v_pack_b32_f16 v7, v7, v12
	v_add_f16_e32 v37, v34, v18
	v_sub_f16_e32 v38, v35, v36
	v_sub_f16_e32 v13, v18, v34
	v_add_f16_e32 v14, v36, v35
	ds_write2_b32 v16, v9, v7 offset0:52 offset1:78
	v_pack_b32_f16 v7, v8, v15
	v_pack_b32_f16 v8, v40, v39
	;; [unrolled: 1-line block ×4, first 2 shown]
	ds_write2_b32 v16, v7, v8 offset0:104 offset1:130
	v_pack_b32_f16 v7, v38, v37
	ds_write2_b32 v16, v11, v13 offset1:26
	ds_write_b32 v16, v7 offset:624
.LBB0_19:
	s_or_b64 exec, exec, s[4:5]
	v_mov_b32_e32 v7, 0
	v_lshlrev_b64 v[8:9], 2, v[6:7]
	v_lshlrev_b32_e32 v12, 2, v19
	v_mov_b32_e32 v13, v7
	v_mov_b32_e32 v14, s13
	v_add_co_u32_e64 v8, s[0:1], s12, v8
	v_lshlrev_b64 v[12:13], 2, v[12:13]
	v_addc_co_u32_e64 v9, s[0:1], v14, v9, s[0:1]
	v_add_co_u32_e64 v12, s[0:1], s12, v12
	s_waitcnt lgkmcnt(0)
	s_barrier
	global_load_dwordx4 v[8:11], v[8:9], off offset:676
	v_addc_co_u32_e64 v13, s[0:1], v14, v13, s[0:1]
	global_load_dwordx4 v[12:15], v[12:13], off offset:676
	ds_read2_b32 v[16:17], v24 offset0:91 offset1:182
	v_add_u32_e32 v18, 0x400, v24
	v_add_u32_e32 v20, 0x600, v24
	v_lshl_add_u32 v22, v25, 2, v27
	v_add_u32_e32 v27, 0x800, v24
	ds_read_b32 v28, v23
	ds_read_b32 v29, v24 offset:3276
	ds_read2_b32 v[18:19], v18 offset0:17 offset1:108
	ds_read2_b32 v[20:21], v20 offset0:71 offset1:162
	;; [unrolled: 1-line block ×3, first 2 shown]
	s_waitcnt lgkmcnt(5)
	v_lshrrev_b32_e32 v33, 16, v17
	s_movk_i32 s0, 0x3b9c
	s_waitcnt lgkmcnt(2)
	v_lshrrev_b32_e32 v36, 16, v19
	s_waitcnt lgkmcnt(1)
	v_lshrrev_b32_e32 v37, 16, v21
	;; [unrolled: 2-line block ×3, first 2 shown]
	v_lshrrev_b32_e32 v39, 16, v18
	v_lshrrev_b32_e32 v34, 16, v20
	;; [unrolled: 1-line block ×3, first 2 shown]
	s_mov_b32 s5, 0xbb9c
	s_movk_i32 s1, 0x38b4
	s_mov_b32 s6, 0xb8b4
	s_movk_i32 s4, 0x34f2
	v_lshrrev_b32_e32 v32, 16, v29
	v_lshrrev_b32_e32 v30, 16, v28
	;; [unrolled: 1-line block ×3, first 2 shown]
	s_waitcnt vmcnt(0)
	s_barrier
	v_mul_f16_sdwa v40, v8, v33 dst_sel:DWORD dst_unused:UNUSED_PAD src0_sel:WORD_1 src1_sel:DWORD
	v_mul_f16_sdwa v41, v8, v17 dst_sel:DWORD dst_unused:UNUSED_PAD src0_sel:WORD_1 src1_sel:DWORD
	;; [unrolled: 1-line block ×8, first 2 shown]
	v_fma_f16 v17, v8, v17, -v40
	v_fma_f16 v8, v8, v33, v41
	v_fma_f16 v19, v9, v19, -v42
	v_fma_f16 v21, v10, v21, -v44
	v_mul_f16_sdwa v33, v12, v39 dst_sel:DWORD dst_unused:UNUSED_PAD src0_sel:WORD_1 src1_sel:DWORD
	v_fma_f16 v9, v9, v36, v43
	v_fma_f16 v10, v10, v37, v45
	v_fma_f16 v26, v11, v26, -v46
	v_fma_f16 v11, v11, v38, v47
	v_mul_f16_sdwa v36, v12, v18 dst_sel:DWORD dst_unused:UNUSED_PAD src0_sel:WORD_1 src1_sel:DWORD
	v_mul_f16_sdwa v37, v34, v13 dst_sel:DWORD dst_unused:UNUSED_PAD src0_sel:DWORD src1_sel:WORD_1
	v_mul_f16_sdwa v38, v20, v13 dst_sel:DWORD dst_unused:UNUSED_PAD src0_sel:DWORD src1_sel:WORD_1
	v_fma_f16 v18, v12, v18, -v33
	v_add_f16_e32 v33, v19, v21
	v_mul_f16_sdwa v40, v35, v14 dst_sel:DWORD dst_unused:UNUSED_PAD src0_sel:DWORD src1_sel:WORD_1
	v_mul_f16_sdwa v41, v25, v14 dst_sel:DWORD dst_unused:UNUSED_PAD src0_sel:DWORD src1_sel:WORD_1
	v_fma_f16 v12, v12, v39, v36
	v_fma_f16 v20, v20, v13, -v37
	v_fma_f16 v13, v34, v13, v38
	v_sub_f16_e32 v34, v8, v11
	v_sub_f16_e32 v36, v17, v19
	;; [unrolled: 1-line block ×3, first 2 shown]
	v_fma_f16 v33, v33, -0.5, v28
	v_fma_f16 v25, v25, v14, -v40
	v_fma_f16 v14, v35, v14, v41
	v_sub_f16_e32 v35, v9, v10
	v_add_f16_e32 v36, v36, v37
	v_fma_f16 v37, v34, s0, v33
	v_fma_f16 v33, v34, s5, v33
	;; [unrolled: 1-line block ×4, first 2 shown]
	v_mul_f16_sdwa v42, v32, v15 dst_sel:DWORD dst_unused:UNUSED_PAD src0_sel:DWORD src1_sel:WORD_1
	v_mul_f16_sdwa v43, v29, v15 dst_sel:DWORD dst_unused:UNUSED_PAD src0_sel:DWORD src1_sel:WORD_1
	v_fma_f16 v37, v36, s4, v37
	v_fma_f16 v33, v36, s4, v33
	v_add_f16_e32 v36, v17, v26
	v_fma_f16 v29, v29, v15, -v42
	v_fma_f16 v15, v32, v15, v43
	v_add_f16_e32 v32, v28, v17
	v_fma_f16 v28, v36, -0.5, v28
	v_add_f16_e32 v32, v32, v19
	v_fma_f16 v36, v35, s5, v28
	v_fma_f16 v28, v35, s0, v28
	v_add_f16_e32 v35, v9, v10
	v_add_f16_e32 v32, v32, v21
	v_sub_f16_e32 v38, v19, v17
	v_sub_f16_e32 v39, v21, v26
	v_fma_f16 v35, v35, -0.5, v30
	v_sub_f16_e32 v17, v17, v26
	v_add_f16_e32 v32, v32, v26
	v_fma_f16 v36, v34, s1, v36
	v_add_f16_e32 v38, v38, v39
	v_fma_f16 v28, v34, s6, v28
	v_fma_f16 v26, v17, s5, v35
	v_sub_f16_e32 v19, v19, v21
	v_fma_f16 v36, v38, s4, v36
	v_fma_f16 v28, v38, s4, v28
	;; [unrolled: 1-line block ×3, first 2 shown]
	v_sub_f16_e32 v26, v8, v9
	v_sub_f16_e32 v38, v11, v10
	v_fma_f16 v35, v17, s0, v35
	v_add_f16_e32 v34, v30, v8
	v_add_f16_e32 v26, v26, v38
	v_fma_f16 v35, v19, s1, v35
	v_add_f16_e32 v34, v34, v9
	v_fma_f16 v21, v26, s4, v21
	v_fma_f16 v26, v26, s4, v35
	v_add_f16_e32 v35, v8, v11
	v_add_f16_e32 v34, v34, v10
	v_fma_f16 v30, v35, -0.5, v30
	v_add_f16_e32 v34, v34, v11
	v_fma_f16 v35, v19, s0, v30
	v_sub_f16_e32 v8, v9, v8
	v_sub_f16_e32 v9, v10, v11
	v_fma_f16 v10, v19, s5, v30
	v_add_f16_e32 v11, v20, v25
	v_fma_f16 v35, v17, s6, v35
	v_add_f16_e32 v8, v8, v9
	v_fma_f16 v10, v17, s1, v10
	v_fma_f16 v11, v11, -0.5, v16
	v_sub_f16_e32 v17, v12, v15
	v_fma_f16 v9, v8, s4, v35
	v_fma_f16 v19, v17, s0, v11
	v_sub_f16_e32 v30, v13, v14
	v_sub_f16_e32 v35, v18, v20
	;; [unrolled: 1-line block ×3, first 2 shown]
	v_fma_f16 v11, v17, s5, v11
	v_fma_f16 v19, v30, s1, v19
	v_add_f16_e32 v35, v35, v38
	v_fma_f16 v11, v30, s6, v11
	v_fma_f16 v19, v35, s4, v19
	;; [unrolled: 1-line block ×3, first 2 shown]
	v_add_f16_e32 v35, v18, v29
	v_fma_f16 v8, v8, s4, v10
	v_add_f16_e32 v10, v16, v18
	v_fma_f16 v16, v35, -0.5, v16
	v_add_f16_e32 v10, v10, v20
	v_fma_f16 v35, v30, s5, v16
	v_fma_f16 v16, v30, s0, v16
	v_add_f16_e32 v30, v13, v14
	v_add_f16_e32 v10, v10, v25
	v_sub_f16_e32 v38, v20, v18
	v_sub_f16_e32 v39, v25, v29
	v_fma_f16 v30, v30, -0.5, v31
	v_sub_f16_e32 v18, v18, v29
	v_add_f16_e32 v10, v10, v29
	v_fma_f16 v35, v17, s1, v35
	v_add_f16_e32 v38, v38, v39
	v_fma_f16 v16, v17, s6, v16
	v_fma_f16 v29, v18, s5, v30
	v_sub_f16_e32 v20, v20, v25
	v_fma_f16 v35, v38, s4, v35
	v_fma_f16 v16, v38, s4, v16
	;; [unrolled: 1-line block ×3, first 2 shown]
	v_sub_f16_e32 v29, v12, v13
	v_sub_f16_e32 v38, v15, v14
	v_fma_f16 v30, v18, s0, v30
	v_add_f16_e32 v29, v29, v38
	v_fma_f16 v30, v20, s1, v30
	v_add_f16_e32 v17, v31, v12
	v_fma_f16 v25, v29, s4, v25
	v_fma_f16 v29, v29, s4, v30
	v_add_f16_e32 v30, v12, v15
	v_add_f16_e32 v17, v17, v13
	v_fma_f16 v30, v30, -0.5, v31
	v_add_f16_e32 v17, v17, v14
	v_fma_f16 v31, v20, s0, v30
	v_sub_f16_e32 v12, v13, v12
	v_sub_f16_e32 v13, v14, v15
	v_fma_f16 v14, v20, s5, v30
	v_add_f16_e32 v17, v17, v15
	v_fma_f16 v31, v18, s6, v31
	v_fma_f16 v14, v18, s1, v14
	v_pack_b32_f16 v15, v37, v21
	v_pack_b32_f16 v9, v36, v9
	v_add_u32_e32 v18, 0x200, v24
	v_add_f16_e32 v12, v12, v13
	ds_write2_b32 v18, v15, v9 offset0:54 offset1:236
	v_pack_b32_f16 v8, v28, v8
	v_pack_b32_f16 v9, v33, v26
	v_fma_f16 v13, v12, s4, v31
	v_fma_f16 v12, v12, s4, v14
	v_pack_b32_f16 v14, v32, v34
	ds_write2_b32 v27, v8, v9 offset0:34 offset1:216
	v_pack_b32_f16 v8, v10, v17
	ds_write2_b32 v24, v14, v8 offset1:91
	v_pack_b32_f16 v8, v19, v25
	v_pack_b32_f16 v9, v35, v13
	v_add_u32_e32 v10, 0x400, v22
	ds_write2_b32 v10, v8, v9 offset0:17 offset1:199
	v_pack_b32_f16 v8, v16, v12
	v_pack_b32_f16 v9, v11, v29
	v_add_u32_e32 v10, 0x900, v22
	ds_write2_b32 v10, v8, v9 offset0:61 offset1:243
	s_waitcnt lgkmcnt(0)
	s_barrier
	ds_read_b32 v14, v23
	v_sub_u32_e32 v10, v0, v6
	v_cmp_ne_u32_e64 s[0:1], 0, v5
                                        ; implicit-def: $vgpr12
                                        ; implicit-def: $vgpr11
                                        ; implicit-def: $vgpr13
                                        ; implicit-def: $vgpr8_vgpr9
	s_and_saveexec_b64 s[4:5], s[0:1]
	s_xor_b64 s[4:5], exec, s[4:5]
	s_cbranch_execz .LBB0_21
; %bb.20:
	v_mov_b32_e32 v6, v7
	v_lshlrev_b64 v[7:8], 2, v[5:6]
	v_mov_b32_e32 v9, s13
	v_add_co_u32_e64 v7, s[0:1], s12, v7
	v_addc_co_u32_e64 v8, s[0:1], v9, v8, s[0:1]
	global_load_dword v7, v[7:8], off offset:3588
	ds_read_b32 v8, v10 offset:3640
	s_mov_b32 s0, 0xffff
	s_waitcnt lgkmcnt(0)
	v_pk_add_f16 v9, v14, v8 neg_lo:[0,1] neg_hi:[0,1]
	v_pk_add_f16 v8, v8, v14
	v_bfi_b32 v11, s0, v9, v8
	v_bfi_b32 v8, s0, v8, v9
	v_pk_mul_f16 v9, v11, 0.5 op_sel_hi:[1,0]
	v_pk_mul_f16 v11, v8, 0.5 op_sel_hi:[1,0]
	s_waitcnt vmcnt(0)
	v_pk_mul_f16 v12, v7, v9 op_sel:[1,0]
	v_pk_mul_f16 v7, v7, v9 op_sel_hi:[0,1]
	v_pk_fma_f16 v8, v8, 0.5, v12 op_sel_hi:[1,0,1]
	v_sub_f16_e32 v9, v11, v12
	v_sub_f16_sdwa v12, v12, v11 dst_sel:DWORD dst_unused:UNUSED_PAD src0_sel:WORD_1 src1_sel:WORD_1
	v_pk_add_f16 v14, v8, v7 op_sel:[0,1] op_sel_hi:[1,0]
	v_pk_add_f16 v8, v8, v7 op_sel:[0,1] op_sel_hi:[1,0] neg_lo:[0,1] neg_hi:[0,1]
	v_sub_f16_sdwa v11, v9, v7 dst_sel:DWORD dst_unused:UNUSED_PAD src0_sel:DWORD src1_sel:WORD_1
	v_sub_f16_e32 v13, v12, v7
	v_bfi_b32 v12, s0, v14, v8
	v_mov_b32_e32 v9, v6
	v_mov_b32_e32 v8, v5
                                        ; implicit-def: $vgpr14
.LBB0_21:
	s_andn2_saveexec_b64 s[0:1], s[4:5]
	s_cbranch_execz .LBB0_23
; %bb.22:
	ds_read_u16 v6, v0 offset:1822
	s_waitcnt lgkmcnt(1)
	v_alignbit_b32 v7, s0, v14, 16
	v_pk_add_f16 v7, v7, v14
	v_mov_b32_e32 v8, 0
	v_sub_f16_sdwa v11, v14, v14 dst_sel:DWORD dst_unused:UNUSED_PAD src0_sel:DWORD src1_sel:WORD_1
	v_pack_b32_f16 v12, v7, 0
	s_waitcnt lgkmcnt(0)
	v_xor_b32_e32 v6, 0x8000, v6
	v_mov_b32_e32 v9, 0
	v_mov_b32_e32 v13, 0
	ds_write_b16 v0, v6 offset:1822
.LBB0_23:
	s_or_b64 exec, exec, s[0:1]
	s_add_u32 s0, s12, 0xe04
	v_lshlrev_b64 v[6:7], 2, v[8:9]
	s_addc_u32 s1, s13, 0
	v_mov_b32_e32 v8, s1
	v_add_co_u32_e64 v6, s[0:1], s0, v6
	v_addc_co_u32_e64 v7, s[0:1], v8, v7, s[0:1]
	global_load_dword v8, v[6:7], off offset:364
	global_load_dword v9, v[6:7], off offset:728
	s_waitcnt lgkmcnt(0)
	global_load_dword v14, v[6:7], off offset:1092
	ds_write_b16 v10, v13 offset:3642
	ds_write_b32 v23, v12
	ds_write_b16 v10, v11 offset:3640
	ds_read_b32 v11, v23 offset:364
	ds_read_b32 v12, v10 offset:3276
	global_load_dword v6, v[6:7], off offset:1456
	s_mov_b32 s0, 0xffff
	s_waitcnt lgkmcnt(0)
	v_pk_add_f16 v7, v11, v12 neg_lo:[0,1] neg_hi:[0,1]
	v_pk_add_f16 v11, v11, v12
	v_bfi_b32 v12, s0, v7, v11
	v_bfi_b32 v7, s0, v11, v7
	v_pk_mul_f16 v11, v12, 0.5 op_sel_hi:[1,0]
	v_pk_mul_f16 v12, v7, 0.5 op_sel_hi:[1,0]
	s_waitcnt vmcnt(3)
	v_pk_mul_f16 v13, v8, v11 op_sel:[1,0]
	v_pk_mul_f16 v8, v8, v11 op_sel_hi:[0,1]
	v_pk_fma_f16 v7, v7, 0.5, v13 op_sel_hi:[1,0,1]
	v_sub_f16_e32 v11, v12, v13
	v_sub_f16_sdwa v12, v13, v12 dst_sel:DWORD dst_unused:UNUSED_PAD src0_sel:WORD_1 src1_sel:WORD_1
	v_pk_add_f16 v13, v7, v8 op_sel:[0,1] op_sel_hi:[1,0]
	v_pk_add_f16 v7, v7, v8 op_sel:[0,1] op_sel_hi:[1,0] neg_lo:[0,1] neg_hi:[0,1]
	v_sub_f16_sdwa v11, v11, v8 dst_sel:DWORD dst_unused:UNUSED_PAD src0_sel:DWORD src1_sel:WORD_1
	v_sub_f16_e32 v8, v12, v8
	v_bfi_b32 v7, s0, v13, v7
	ds_write_b16 v10, v8 offset:3278
	ds_write_b32 v23, v7 offset:364
	ds_write_b16 v10, v11 offset:3276
	ds_read_b32 v7, v23 offset:728
	ds_read_b32 v8, v10 offset:2912
	s_waitcnt lgkmcnt(0)
	v_pk_add_f16 v11, v7, v8 neg_lo:[0,1] neg_hi:[0,1]
	v_pk_add_f16 v7, v7, v8
	v_bfi_b32 v8, s0, v11, v7
	v_bfi_b32 v7, s0, v7, v11
	v_pk_mul_f16 v8, v8, 0.5 op_sel_hi:[1,0]
	v_pk_mul_f16 v11, v7, 0.5 op_sel_hi:[1,0]
	s_waitcnt vmcnt(2)
	v_pk_mul_f16 v12, v9, v8 op_sel:[1,0]
	v_pk_mul_f16 v8, v9, v8 op_sel_hi:[0,1]
	v_pk_fma_f16 v7, v7, 0.5, v12 op_sel_hi:[1,0,1]
	v_sub_f16_e32 v9, v11, v12
	v_sub_f16_sdwa v11, v12, v11 dst_sel:DWORD dst_unused:UNUSED_PAD src0_sel:WORD_1 src1_sel:WORD_1
	v_pk_add_f16 v12, v7, v8 op_sel:[0,1] op_sel_hi:[1,0]
	v_pk_add_f16 v7, v7, v8 op_sel:[0,1] op_sel_hi:[1,0] neg_lo:[0,1] neg_hi:[0,1]
	v_sub_f16_sdwa v9, v9, v8 dst_sel:DWORD dst_unused:UNUSED_PAD src0_sel:DWORD src1_sel:WORD_1
	v_sub_f16_e32 v8, v11, v8
	v_bfi_b32 v7, s0, v12, v7
	ds_write_b16 v10, v8 offset:2914
	ds_write_b32 v23, v7 offset:728
	ds_write_b16 v10, v9 offset:2912
	ds_read_b32 v7, v23 offset:1092
	ds_read_b32 v8, v10 offset:2548
	s_waitcnt lgkmcnt(0)
	v_pk_add_f16 v9, v7, v8 neg_lo:[0,1] neg_hi:[0,1]
	v_pk_add_f16 v7, v7, v8
	v_bfi_b32 v8, s0, v9, v7
	v_bfi_b32 v7, s0, v7, v9
	v_pk_mul_f16 v8, v8, 0.5 op_sel_hi:[1,0]
	v_pk_mul_f16 v7, v7, 0.5 op_sel_hi:[1,0]
	s_waitcnt vmcnt(1)
	v_pk_fma_f16 v9, v14, v8, v7 op_sel:[1,0,0]
	v_pk_mul_f16 v11, v14, v8 op_sel_hi:[0,1]
	v_pk_fma_f16 v12, v14, v8, v7 op_sel:[1,0,0] neg_lo:[1,0,0] neg_hi:[1,0,0]
	v_pk_fma_f16 v7, v14, v8, v7 op_sel:[1,0,0] neg_lo:[0,0,1] neg_hi:[0,0,1]
	v_pk_add_f16 v8, v9, v11 op_sel:[0,1] op_sel_hi:[1,0]
	v_pk_add_f16 v9, v9, v11 op_sel:[0,1] op_sel_hi:[1,0] neg_lo:[0,1] neg_hi:[0,1]
	v_pk_add_f16 v12, v12, v11 op_sel:[0,1] op_sel_hi:[1,0] neg_lo:[0,1] neg_hi:[0,1]
	;; [unrolled: 1-line block ×3, first 2 shown]
	v_bfi_b32 v8, s0, v8, v9
	v_bfi_b32 v7, s0, v12, v7
	ds_write_b32 v23, v8 offset:1092
	ds_write_b32 v10, v7 offset:2548
	ds_read_b32 v7, v23 offset:1456
	ds_read_b32 v8, v10 offset:2184
	s_waitcnt lgkmcnt(0)
	v_pk_add_f16 v9, v7, v8 neg_lo:[0,1] neg_hi:[0,1]
	v_pk_add_f16 v7, v7, v8
	v_bfi_b32 v8, s0, v9, v7
	v_bfi_b32 v7, s0, v7, v9
	v_pk_mul_f16 v8, v8, 0.5 op_sel_hi:[1,0]
	v_pk_mul_f16 v7, v7, 0.5 op_sel_hi:[1,0]
	s_waitcnt vmcnt(0)
	v_pk_fma_f16 v9, v6, v8, v7 op_sel:[1,0,0]
	v_pk_mul_f16 v11, v6, v8 op_sel_hi:[0,1]
	v_pk_fma_f16 v12, v6, v8, v7 op_sel:[1,0,0] neg_lo:[1,0,0] neg_hi:[1,0,0]
	v_pk_fma_f16 v6, v6, v8, v7 op_sel:[1,0,0] neg_lo:[0,0,1] neg_hi:[0,0,1]
	v_pk_add_f16 v7, v9, v11 op_sel:[0,1] op_sel_hi:[1,0]
	v_pk_add_f16 v8, v9, v11 op_sel:[0,1] op_sel_hi:[1,0] neg_lo:[0,1] neg_hi:[0,1]
	v_pk_add_f16 v9, v12, v11 op_sel:[0,1] op_sel_hi:[1,0] neg_lo:[0,1] neg_hi:[0,1]
	;; [unrolled: 1-line block ×3, first 2 shown]
	v_bfi_b32 v7, s0, v7, v8
	v_bfi_b32 v6, s0, v9, v6
	ds_write_b32 v23, v7 offset:1456
	ds_write_b32 v10, v6 offset:2184
	s_waitcnt lgkmcnt(0)
	s_barrier
	s_and_saveexec_b64 s[0:1], vcc
	s_cbranch_execz .LBB0_26
; %bb.24:
	v_mul_lo_u32 v6, s3, v3
	v_mul_lo_u32 v4, s2, v4
	v_mad_u64_u32 v[7:8], s[0:1], s2, v3, 0
	v_lshl_add_u32 v3, v5, 2, v0
	v_mov_b32_e32 v0, s11
	v_add3_u32 v8, v8, v4, v6
	v_lshlrev_b64 v[7:8], 2, v[7:8]
	v_mov_b32_e32 v6, 0
	v_add_co_u32_e32 v4, vcc, s10, v7
	v_addc_co_u32_e32 v7, vcc, v0, v8, vcc
	v_lshlrev_b64 v[0:1], 2, v[1:2]
	ds_read2_b32 v[9:10], v3 offset1:91
	v_add_co_u32_e32 v0, vcc, v4, v0
	v_addc_co_u32_e32 v1, vcc, v7, v1, vcc
	v_lshlrev_b64 v[7:8], 2, v[5:6]
	v_add_u32_e32 v2, 0x200, v3
	v_add_co_u32_e32 v7, vcc, v0, v7
	v_addc_co_u32_e32 v8, vcc, v1, v8, vcc
	s_waitcnt lgkmcnt(0)
	global_store_dword v[7:8], v9, off
	v_add_u32_e32 v7, 0x5b, v5
	v_mov_b32_e32 v8, v6
	v_lshlrev_b64 v[7:8], 2, v[7:8]
	s_movk_i32 s0, 0x5a
	v_add_co_u32_e32 v7, vcc, v0, v7
	v_addc_co_u32_e32 v8, vcc, v1, v8, vcc
	global_store_dword v[7:8], v10, off
	v_add_u32_e32 v7, 0xb6, v5
	v_mov_b32_e32 v8, v6
	ds_read2_b32 v[9:10], v2 offset0:54 offset1:145
	v_lshlrev_b64 v[7:8], 2, v[7:8]
	v_add_u32_e32 v2, 0x400, v3
	v_add_co_u32_e32 v7, vcc, v0, v7
	v_addc_co_u32_e32 v8, vcc, v1, v8, vcc
	s_waitcnt lgkmcnt(0)
	global_store_dword v[7:8], v9, off
	v_add_u32_e32 v7, 0x111, v5
	v_mov_b32_e32 v8, v6
	v_lshlrev_b64 v[7:8], 2, v[7:8]
	v_add_co_u32_e32 v7, vcc, v0, v7
	v_addc_co_u32_e32 v8, vcc, v1, v8, vcc
	global_store_dword v[7:8], v10, off
	v_add_u32_e32 v7, 0x16c, v5
	v_mov_b32_e32 v8, v6
	ds_read2_b32 v[9:10], v2 offset0:108 offset1:199
	v_lshlrev_b64 v[7:8], 2, v[7:8]
	v_add_u32_e32 v2, 0x800, v3
	v_add_co_u32_e32 v7, vcc, v0, v7
	v_addc_co_u32_e32 v8, vcc, v1, v8, vcc
	s_waitcnt lgkmcnt(0)
	global_store_dword v[7:8], v9, off
	v_add_u32_e32 v7, 0x1c7, v5
	v_mov_b32_e32 v8, v6
	v_lshlrev_b64 v[7:8], 2, v[7:8]
	;; [unrolled: 15-line block ×3, first 2 shown]
	v_add_co_u32_e32 v7, vcc, v0, v7
	v_addc_co_u32_e32 v8, vcc, v1, v8, vcc
	global_store_dword v[7:8], v10, off
	v_add_u32_e32 v7, 0x2d8, v5
	v_mov_b32_e32 v8, v6
	ds_read2_b32 v[9:10], v2 offset0:88 offset1:179
	v_lshlrev_b64 v[7:8], 2, v[7:8]
	v_add_co_u32_e32 v7, vcc, v0, v7
	v_addc_co_u32_e32 v8, vcc, v1, v8, vcc
	s_waitcnt lgkmcnt(0)
	global_store_dword v[7:8], v9, off
	v_add_u32_e32 v7, 0x333, v5
	v_mov_b32_e32 v8, v6
	v_lshlrev_b64 v[6:7], 2, v[7:8]
	v_add_co_u32_e32 v6, vcc, v0, v6
	v_addc_co_u32_e32 v7, vcc, v1, v7, vcc
	v_cmp_eq_u32_e32 vcc, s0, v5
	global_store_dword v[6:7], v10, off
	s_and_b64 exec, exec, vcc
	s_cbranch_execz .LBB0_26
; %bb.25:
	ds_read_b32 v2, v3 offset:3280
	s_waitcnt lgkmcnt(0)
	global_store_dword v[0:1], v2, off offset:3640
.LBB0_26:
	s_endpgm
	.section	.rodata,"a",@progbits
	.p2align	6, 0x0
	.amdhsa_kernel fft_rtc_fwd_len910_factors_13_2_7_5_wgs_182_tpt_91_half_op_CI_CI_unitstride_sbrr_R2C_dirReg
		.amdhsa_group_segment_fixed_size 0
		.amdhsa_private_segment_fixed_size 0
		.amdhsa_kernarg_size 104
		.amdhsa_user_sgpr_count 6
		.amdhsa_user_sgpr_private_segment_buffer 1
		.amdhsa_user_sgpr_dispatch_ptr 0
		.amdhsa_user_sgpr_queue_ptr 0
		.amdhsa_user_sgpr_kernarg_segment_ptr 1
		.amdhsa_user_sgpr_dispatch_id 0
		.amdhsa_user_sgpr_flat_scratch_init 0
		.amdhsa_user_sgpr_private_segment_size 0
		.amdhsa_uses_dynamic_stack 0
		.amdhsa_system_sgpr_private_segment_wavefront_offset 0
		.amdhsa_system_sgpr_workgroup_id_x 1
		.amdhsa_system_sgpr_workgroup_id_y 0
		.amdhsa_system_sgpr_workgroup_id_z 0
		.amdhsa_system_sgpr_workgroup_info 0
		.amdhsa_system_vgpr_workitem_id 0
		.amdhsa_next_free_vgpr 128
		.amdhsa_next_free_sgpr 32
		.amdhsa_reserve_vcc 1
		.amdhsa_reserve_flat_scratch 0
		.amdhsa_float_round_mode_32 0
		.amdhsa_float_round_mode_16_64 0
		.amdhsa_float_denorm_mode_32 3
		.amdhsa_float_denorm_mode_16_64 3
		.amdhsa_dx10_clamp 1
		.amdhsa_ieee_mode 1
		.amdhsa_fp16_overflow 0
		.amdhsa_exception_fp_ieee_invalid_op 0
		.amdhsa_exception_fp_denorm_src 0
		.amdhsa_exception_fp_ieee_div_zero 0
		.amdhsa_exception_fp_ieee_overflow 0
		.amdhsa_exception_fp_ieee_underflow 0
		.amdhsa_exception_fp_ieee_inexact 0
		.amdhsa_exception_int_div_zero 0
	.end_amdhsa_kernel
	.text
.Lfunc_end0:
	.size	fft_rtc_fwd_len910_factors_13_2_7_5_wgs_182_tpt_91_half_op_CI_CI_unitstride_sbrr_R2C_dirReg, .Lfunc_end0-fft_rtc_fwd_len910_factors_13_2_7_5_wgs_182_tpt_91_half_op_CI_CI_unitstride_sbrr_R2C_dirReg
                                        ; -- End function
	.section	.AMDGPU.csdata,"",@progbits
; Kernel info:
; codeLenInByte = 10044
; NumSgprs: 36
; NumVgprs: 128
; ScratchSize: 0
; MemoryBound: 0
; FloatMode: 240
; IeeeMode: 1
; LDSByteSize: 0 bytes/workgroup (compile time only)
; SGPRBlocks: 4
; VGPRBlocks: 31
; NumSGPRsForWavesPerEU: 36
; NumVGPRsForWavesPerEU: 128
; Occupancy: 2
; WaveLimiterHint : 1
; COMPUTE_PGM_RSRC2:SCRATCH_EN: 0
; COMPUTE_PGM_RSRC2:USER_SGPR: 6
; COMPUTE_PGM_RSRC2:TRAP_HANDLER: 0
; COMPUTE_PGM_RSRC2:TGID_X_EN: 1
; COMPUTE_PGM_RSRC2:TGID_Y_EN: 0
; COMPUTE_PGM_RSRC2:TGID_Z_EN: 0
; COMPUTE_PGM_RSRC2:TIDIG_COMP_CNT: 0
	.type	__hip_cuid_c73e08a99947f060,@object ; @__hip_cuid_c73e08a99947f060
	.section	.bss,"aw",@nobits
	.globl	__hip_cuid_c73e08a99947f060
__hip_cuid_c73e08a99947f060:
	.byte	0                               ; 0x0
	.size	__hip_cuid_c73e08a99947f060, 1

	.ident	"AMD clang version 19.0.0git (https://github.com/RadeonOpenCompute/llvm-project roc-6.4.0 25133 c7fe45cf4b819c5991fe208aaa96edf142730f1d)"
	.section	".note.GNU-stack","",@progbits
	.addrsig
	.addrsig_sym __hip_cuid_c73e08a99947f060
	.amdgpu_metadata
---
amdhsa.kernels:
  - .args:
      - .actual_access:  read_only
        .address_space:  global
        .offset:         0
        .size:           8
        .value_kind:     global_buffer
      - .offset:         8
        .size:           8
        .value_kind:     by_value
      - .actual_access:  read_only
        .address_space:  global
        .offset:         16
        .size:           8
        .value_kind:     global_buffer
      - .actual_access:  read_only
        .address_space:  global
        .offset:         24
        .size:           8
        .value_kind:     global_buffer
      - .actual_access:  read_only
        .address_space:  global
        .offset:         32
        .size:           8
        .value_kind:     global_buffer
      - .offset:         40
        .size:           8
        .value_kind:     by_value
      - .actual_access:  read_only
        .address_space:  global
        .offset:         48
        .size:           8
        .value_kind:     global_buffer
      - .actual_access:  read_only
        .address_space:  global
        .offset:         56
        .size:           8
        .value_kind:     global_buffer
      - .offset:         64
        .size:           4
        .value_kind:     by_value
      - .actual_access:  read_only
        .address_space:  global
        .offset:         72
        .size:           8
        .value_kind:     global_buffer
      - .actual_access:  read_only
        .address_space:  global
        .offset:         80
        .size:           8
        .value_kind:     global_buffer
      - .actual_access:  read_only
        .address_space:  global
        .offset:         88
        .size:           8
        .value_kind:     global_buffer
      - .actual_access:  write_only
        .address_space:  global
        .offset:         96
        .size:           8
        .value_kind:     global_buffer
    .group_segment_fixed_size: 0
    .kernarg_segment_align: 8
    .kernarg_segment_size: 104
    .language:       OpenCL C
    .language_version:
      - 2
      - 0
    .max_flat_workgroup_size: 182
    .name:           fft_rtc_fwd_len910_factors_13_2_7_5_wgs_182_tpt_91_half_op_CI_CI_unitstride_sbrr_R2C_dirReg
    .private_segment_fixed_size: 0
    .sgpr_count:     36
    .sgpr_spill_count: 0
    .symbol:         fft_rtc_fwd_len910_factors_13_2_7_5_wgs_182_tpt_91_half_op_CI_CI_unitstride_sbrr_R2C_dirReg.kd
    .uniform_work_group_size: 1
    .uses_dynamic_stack: false
    .vgpr_count:     128
    .vgpr_spill_count: 0
    .wavefront_size: 64
amdhsa.target:   amdgcn-amd-amdhsa--gfx906
amdhsa.version:
  - 1
  - 2
...

	.end_amdgpu_metadata
